;; amdgpu-corpus repo=ROCm/aiter kind=harvested arch=n/a opt=n/a

/root/src/amdgpu-assembly/repos/ROCm__aiter/hsa/gfx950/fmha_v3_bwd/bwd_hd64_bf16_a16_rtna.co:	file format elf64-amdgpu

Disassembly of section .text:

0000000000004000 <_ZN5aiter37fmha_bwd_hd64_bf16_a16_rtna_recompileE>:
	s_and_b32 s1, s1, 0xffff                                   // 000000004000: 8601FF01 0000FFFF
	s_load_dwordx2 s[32:33], s[0:1], 0x0                       // 000000004008: C0060800 00000000
	s_load_dwordx2 s[36:37], s[0:1], 0x10                      // 000000004010: C0060900 00000010
	s_load_dwordx2 s[40:41], s[0:1], 0x20                      // 000000004018: C0060A00 00000020
	s_load_dwordx2 s[8:9], s[0:1], 0x30                        // 000000004020: C0060200 00000030
	s_load_dwordx2 s[12:13], s[0:1], 0x40                      // 000000004028: C0060300 00000040
	s_load_dwordx2 s[16:17], s[0:1], 0x50                      // 000000004030: C0060400 00000050
	s_load_dwordx2 s[20:21], s[0:1], 0x60                      // 000000004038: C0060500 00000060
	s_load_dwordx2 s[24:25], s[0:1], 0x70                      // 000000004040: C0060600 00000070
	s_load_dwordx2 s[28:29], s[0:1], 0x80                      // 000000004048: C0060700 00000080
	s_load_dword s48, s[0:1], 0x90                             // 000000004050: C0020C00 00000090
	s_load_dword s49, s[0:1], 0xa0                             // 000000004058: C0020C40 000000A0
	s_load_dword s50, s[0:1], 0xb0                             // 000000004060: C0020C80 000000B0
	s_load_dword s51, s[0:1], 0xc0                             // 000000004068: C0020CC0 000000C0
	s_load_dword s52, s[0:1], 0xd0                             // 000000004070: C0020D00 000000D0
	s_load_dword s53, s[0:1], 0xe0                             // 000000004078: C0020D40 000000E0
	s_load_dword s70, s[0:1], 0xf0                             // 000000004080: C0021180 000000F0
	s_load_dword s44, s[0:1], 0x100                            // 000000004088: C0020B00 00000100
	s_load_dword s5, s[0:1], 0x110                             // 000000004090: C0020140 00000110
	s_load_dword s6, s[0:1], 0x120                             // 000000004098: C0020180 00000120
	s_load_dword s7, s[0:1], 0x130                             // 0000000040A0: C00201C0 00000130
	s_load_dword s46, s[0:1], 0x140                            // 0000000040A8: C0020B80 00000140
	s_load_dword s87, s[0:1], 0x180                            // 0000000040B0: C00215C0 00000180
	s_load_dword s86, s[0:1], 0x240                            // 0000000040B8: C0021580 00000240
	v_lshrrev_b32_e32 v1, 10, v0                               // 0000000040C0: 2002008A
	v_lshrrev_b32_e32 v2, 10, v1                               // 0000000040C4: 2004028A
	v_and_b32_e32 v2, 0x3ff, v2                                // 0000000040C8: 260404FF 000003FF
	v_and_b32_e32 v1, 0x3ff, v1                                // 0000000040D0: 260202FF 000003FF
	v_and_b32_e32 v0, 0x3ff, v0                                // 0000000040D8: 260000FF 000003FF
	v_lshrrev_b32_e32 v3, 6, v0                                // 0000000040E0: 20060086
	v_and_b32_e32 v0, 63, v0                                   // 0000000040E4: 260000BF
	s_mov_b32 s2, s2                                           // 0000000040E8: BE820002
	s_mov_b32 s3, s3                                           // 0000000040EC: BE830003
	s_mov_b32 s4, s4                                           // 0000000040F0: BE840004
	v_readfirstlane_b32 s47, v3                                // 0000000040F4: 7E5E0503
	s_waitcnt lgkmcnt(0)                                       // 0000000040F8: BF8CC07F
	s_mov_b32 s10, 0x80000000                                  // 0000000040FC: BE8A00FF 80000000
	s_mov_b32 s14, 0x80000000                                  // 000000004104: BE8E00FF 80000000
	s_mov_b32 s18, 0x80000000                                  // 00000000410C: BE9200FF 80000000
	s_mov_b32 s22, 0x80000000                                  // 000000004114: BE9600FF 80000000
	s_mov_b32 s26, 0x80000000                                  // 00000000411C: BE9A00FF 80000000
	s_mov_b32 s30, 0x80000000                                  // 000000004124: BE9E00FF 80000000
	s_mov_b32 s38, 0x80000000                                  // 00000000412C: BEA600FF 80000000
	s_mov_b32 s42, 0x80000000                                  // 000000004134: BEAA00FF 80000000
	s_mov_b32 s11, 0x20000                                     // 00000000413C: BE8B00FF 00020000
	s_mov_b32 s15, 0x20000                                     // 000000004144: BE8F00FF 00020000
	s_mov_b32 s19, 0x20000                                     // 00000000414C: BE9300FF 00020000
	s_mov_b32 s23, 0x20000                                     // 000000004154: BE9700FF 00020000
	s_mov_b32 s27, 0x20000                                     // 00000000415C: BE9B00FF 00020000
	s_mov_b32 s31, 0x20000                                     // 000000004164: BE9F00FF 00020000
	s_mov_b32 s39, 0x20000                                     // 00000000416C: BEA700FF 00020000
	s_mov_b32 s43, 0x20000                                     // 000000004174: BEAB00FF 00020000
	s_and_b32 s9, s9, 0xffff                                   // 00000000417C: 8609FF09 0000FFFF
	s_and_b32 s13, s13, 0xffff                                 // 000000004184: 860DFF0D 0000FFFF
	s_and_b32 s17, s17, 0xffff                                 // 00000000418C: 8611FF11 0000FFFF
	s_and_b32 s21, s21, 0xffff                                 // 000000004194: 8615FF15 0000FFFF
	s_and_b32 s25, s25, 0xffff                                 // 00000000419C: 8619FF19 0000FFFF
	s_and_b32 s29, s29, 0xffff                                 // 0000000041A4: 861DFF1D 0000FFFF
	s_and_b32 s37, s37, 0xffff                                 // 0000000041AC: 8625FF25 0000FFFF
	s_and_b32 s41, s41, 0xffff                                 // 0000000041B4: 8629FF29 0000FFFF
	s_or_b32 s9, s9, 0x40000                                   // 0000000041BC: 8709FF09 00040000
	s_or_b32 s13, s13, 0x40000                                 // 0000000041C4: 870DFF0D 00040000
	s_or_b32 s17, s17, 0x40000                                 // 0000000041CC: 8711FF11 00040000
	s_or_b32 s21, s21, 0x40000                                 // 0000000041D4: 8715FF15 00040000
	s_or_b32 s25, s25, 0x40000                                 // 0000000041DC: 8719FF19 00040000
	s_or_b32 s29, s29, 0x40000                                 // 0000000041E4: 871DFF1D 00040000
	s_or_b32 s37, s37, 0x40000                                 // 0000000041EC: 8725FF25 00040000
	s_or_b32 s41, s41, 0x40000                                 // 0000000041F4: 8729FF29 00040000
	v_accvgpr_write_b32 a159, 0                                // 0000000041FC: D3D9409F 18000080
	v_mov_b32_e32 v230, 0                                      // 000000004204: 7FCC0280
	s_mov_b32 s78, s8                                          // 000000004208: BECE0008
	s_mov_b32 s80, s12                                         // 00000000420C: BED0000C
	s_mov_b32 s82, s16                                         // 000000004210: BED20010
	s_mov_b32 s84, s20                                         // 000000004214: BED40014
	s_mov_b32 s79, s9                                          // 000000004218: BECF0009
	s_mov_b32 s81, s13                                         // 00000000421C: BED1000D
	s_mov_b32 s83, s17                                         // 000000004220: BED30011
	s_mov_b32 s85, s21                                         // 000000004224: BED50015
	s_mov_b32 s71, s3                                          // 000000004228: BEC70003
	v_cvt_f32_u32_e32 v32, s44                                 // 00000000422C: 7E400C2C
	s_sub_i32 s60, 0, s44                                      // 000000004230: 81BC2C80
	v_rcp_iflag_f32_e32 v32, v32                               // 000000004234: 7E404720
	s_nop 0                                                    // 000000004238: BF800000
	v_mul_f32_e32 v32, 0x4f7ffffe, v32                         // 00000000423C: 0A4040FF 4F7FFFFE
	v_cvt_u32_f32_e32 v32, v32                                 // 000000004244: 7E400F20
	v_mul_lo_u32 v33, s60, v32                                 // 000000004248: D2850021 0002403C
	v_mul_hi_u32 v33, v32, v33                                 // 000000004250: D2860021 00024320
	v_add_u32_e32 v32, v32, v33                                // 000000004258: 68404320
	v_mul_hi_u32 v32, s71, v32                                 // 00000000425C: D2860020 00024047
	v_mul_lo_u32 v33, v32, s44                                 // 000000004264: D2850021 00005920
	v_sub_u32_e32 v35, s71, v33                                // 00000000426C: 6A464247
	v_add_u32_e32 v34, 1, v32                                  // 000000004270: 68444081
	v_cmp_le_u32_e32 vcc, s44, v35                             // 000000004274: 7D96462C
	v_subrev_u32_e32 v33, s44, v35                             // 000000004278: 6C42462C
	s_nop 0                                                    // 00000000427C: BF800000
	v_cndmask_b32_e32 v32, v32, v34, vcc                       // 000000004280: 00404520
	v_cndmask_b32_e32 v35, v35, v33, vcc                       // 000000004284: 00464323
	v_add_u32_e32 v33, 1, v32                                  // 000000004288: 68424081
	v_cmp_le_u32_e32 vcc, s44, v35                             // 00000000428C: 7D96462C
	s_nop 1                                                    // 000000004290: BF800001
	v_cndmask_b32_e32 v35, v32, v33, vcc                       // 000000004294: 00464320
	s_nop 3                                                    // 000000004298: BF800003
	v_readfirstlane_b32 s45, v35                               // 00000000429C: 7E5A0523
	s_nop 3                                                    // 0000000042A0: BF800003
	v_mov_b32_e32 v32, s48                                     // 0000000042A4: 7E400230
	v_mul_f32_e32 v32, s49, v32                                // 0000000042A8: 0A404031
	s_mov_b32 s66, 0                                           // 0000000042AC: BEC20080
	s_mov_b32 s58, s50                                         // 0000000042B0: BEBA0032
	s_mov_b32 s59, 0                                           // 0000000042B4: BEBB0080
	s_mov_b32 s63, 0x5040100                                   // 0000000042B8: BEBF00FF 05040100
	s_mov_b32 s64, 0x7060302                                   // 0000000042C0: BEC000FF 07060302
	v_readfirstlane_b32 s57, v32                               // 0000000042C8: 7E720520
	v_mov_b32_e32 v34, 0x3020706                               // 0000000042CC: 7E4402FF 03020706
	v_mov_b32_e32 v32, s63                                     // 0000000042D4: 7E40023F
	v_and_b32_e32 v33, 1, v0                                   // 0000000042D8: 26420081
	v_cmp_eq_u32_e32 vcc, 1, v33                               // 0000000042DC: 7D944281
	s_mul_i32 s67, 32, s70                                     // 0000000042E0: 924346A0
	v_cndmask_b32_e32 v21, v32, v34, vcc                       // 0000000042E4: 002A4520
	v_mov_b32_e32 v227, 0xffff0000                             // 0000000042E8: 7FC602FF FFFF0000
	v_mov_b32_e32 v228, 0x7fff0000                             // 0000000042F0: 7FC802FF 7FFF0000
	v_mov_b32_e32 v229, 0x7fff                                 // 0000000042F8: 7FCA02FF 00007FFF
	s_cmp_lt_u32 s47, 2                                        // 000000004300: BF0A822F
	s_cselect_b32 s24, s24, s28                                // 000000004304: 85181C18
	s_cselect_b32 s25, s25, s29                                // 000000004308: 85191D19
	s_cselect_b32 s26, s26, s30                                // 00000000430C: 851A1E1A
	s_cselect_b32 s27, s27, s31                                // 000000004310: 851B1F1B
	s_lshr_b32 s60, s47, 1                                     // 000000004314: 8F3C812F
	s_lshl_b32 s60, s60, 8                                     // 000000004318: 8E3C883C
	s_add_u32 s76, 0x8b00, s60                                 // 00000000431C: 804C3CFF 00008B00
	s_add_u32 s77, 0x200, s76                                  // 000000004324: 804D4CFF 00000200
	s_mov_b32 m0, s76                                          // 00000000432C: BEFC004C
	v_mov_b32_e32 v230, 0xff800000                             // 000000004330: 7FCC02FF FF800000
	s_mul_i32 s68, 32, s70                                     // 000000004338: 924446A0
	s_mov_b32 s69, 32                                          // 00000000433C: BEC500A0
	s_mul_i32 s60, s2, s51                                     // 000000004340: 923C3302
	s_mul_i32 s61, s45, s5                                     // 000000004344: 923D052D
	s_add_u32 s54, s60, s61                                    // 000000004348: 80363D3C
	s_mul_i32 s61, s3, s52                                     // 00000000434C: 923D3403
	s_mov_b32 s55, s61                                         // 000000004350: BEB7003D
	s_mov_b32 s56, s55                                         // 000000004354: BEB80037
	s_mul_i32 s62, s4, s87                                     // 000000004358: 923E5704
	s_mul_i32 s62, s62, s86                                    // 00000000435C: 923E563E
	s_mul_i32 s61, s3, s86                                     // 000000004360: 923D5603
	s_add_u32 s65, s61, s62                                    // 000000004364: 80413E3D
	s_mov_b32 s71, s7                                          // 000000004368: BEC70007
	v_lshrrev_b32_e32 v32, 4, v0                               // 00000000436C: 20400084
	v_and_b32_e32 v33, 1, v32                                  // 000000004370: 26424081
	v_lshlrev_b32_e32 v33, 1, v33                              // 000000004374: 24424281
	v_mul_i32_i24_e32 v33, s71, v33                            // 000000004378: 0C424247
	v_and_b32_e32 v34, 2, v32                                  // 00000000437C: 26444082
	v_lshlrev_b32_e32 v34, 5, v34                              // 000000004380: 24444485
	v_add_u32_e32 v33, v34, v33                                // 000000004384: 68424322
	v_and_b32_e32 v32, 15, v0                                  // 000000004388: 2640008F
	v_lshlrev_b32_e32 v32, 2, v32                              // 00000000438C: 24404082
	v_add_u32_e32 v1, v32, v33                                 // 000000004390: 68024320
	s_mul_i32 s60, s47, s71                                    // 000000004394: 923C472F
	s_mul_i32 s60, s60, 4                                      // 000000004398: 923C843C
	v_add_u32_e32 v1, s60, v1                                  // 00000000439C: 6802023C
	v_add_u32_e32 v2, s71, v1                                  // 0000000043A0: 68040247
	s_mul_i32 s60, 16, s71                                     // 0000000043A4: 923C4790
	v_add_u32_e32 v3, s60, v1                                  // 0000000043A8: 6806023C
	v_add_u32_e32 v4, s60, v2                                  // 0000000043AC: 6808043C
	v_lshrrev_b32_e32 v1, 2, v1                                // 0000000043B0: 20020282
	v_lshrrev_b32_e32 v2, 2, v2                                // 0000000043B4: 20040482
	s_add_u32 s12, s54, s80                                    // 0000000043B8: 800C5036
	s_addc_u32 s13, 0, s81                                     // 0000000043BC: 820D5180
	s_mul_i32 s60, s4, s6                                      // 0000000043C0: 923C0604
	s_mul_hi_u32 s61, s4, s6                                   // 0000000043C4: 963D0604
	s_and_b32 s61, s61, 0xffff                                 // 0000000043C8: 863DFF3D 0000FFFF
	s_add_u32 s12, s12, s60                                    // 0000000043D0: 800C3C0C
	s_addc_u32 s13, s13, s61                                   // 0000000043D4: 820D3D0D
	s_add_u32 s16, s54, s82                                    // 0000000043D8: 80105236
	s_addc_u32 s17, 0, s83                                     // 0000000043DC: 82115380
	s_add_u32 s16, s16, s60                                    // 0000000043E0: 80103C10
	s_addc_u32 s17, s17, s61                                   // 0000000043E4: 82113D11
	s_add_u32 s8, s55, s78                                     // 0000000043E8: 80084E37
	s_addc_u32 s9, 0, s79                                      // 0000000043EC: 82094F80
	s_mul_i32 s60, s4, s53                                     // 0000000043F0: 923C3504
	s_mul_hi_u32 s61, s4, s53                                  // 0000000043F4: 963D3504
	s_and_b32 s61, s61, 0xffff                                 // 0000000043F8: 863DFF3D 0000FFFF
	s_add_u32 s8, s8, s60                                      // 000000004400: 80083C08
	s_addc_u32 s9, s9, s61                                     // 000000004404: 82093D09
	s_add_u32 s20, s56, s84                                    // 000000004408: 80145438
	s_addc_u32 s21, 0, s85                                     // 00000000440C: 82155580
	s_add_u32 s20, s20, s60                                    // 000000004410: 80143C14
	s_addc_u32 s21, s21, s61                                   // 000000004414: 82153D15
	v_and_b32_e32 v15, 31, v0                                  // 000000004418: 261E009F
	v_lshlrev_b32_e32 v15, 2, v15                              // 00000000441C: 241E1E82
	v_add_u32_e32 v15, s65, v15                                // 000000004420: 681E1E41
	v_lshrrev_b32_e32 v15, 2, v15                              // 000000004424: 201E1E82
	v_lshrrev_b32_e32 v32, 3, v0                               // 000000004428: 20400083
	v_mul_i32_i24_e32 v5, s46, v32                             // 00000000442C: 0C0A402E
	v_lshrrev_b32_e32 v5, 2, v5                                // 000000004430: 200A0A82
	v_and_b32_e32 v32, 7, v0                                   // 000000004434: 26400087
	v_lshlrev_b32_e32 v33, 2, v32                              // 000000004438: 24424082
	v_add_u32_e32 v5, v33, v5                                  // 00000000443C: 680A0B21
	s_mul_i32 s60, 16, s46                                     // 000000004440: 923C2E90
	s_mul_i32 s60, s47, s60                                    // 000000004444: 923C3C2F
	v_lshlrev_b32_e32 v5, 2, v5                                // 000000004448: 240A0A82
	v_add_u32_e32 v5, s60, v5                                  // 00000000444C: 680A0A3C
	s_mul_i32 s60, 0xc0, s46                                   // 000000004450: 923C2EFF 000000C0
	s_mul_i32 s60, s2, s60                                     // 000000004458: 923C3C02
	s_mul_i32 s61, s3, s5                                      // 00000000445C: 923D0503
	s_add_u32 s60, s60, s61                                    // 000000004460: 803C3D3C
	v_add_u32_e32 v5, s60, v5                                  // 000000004464: 680A0A3C
	v_lshrrev_b32_e32 v5, 2, v5                                // 000000004468: 200A0A82
	v_mov_b32_e32 v14, v5                                      // 00000000446C: 7E1C0305
	s_mul_i32 s60, s6, s44                                     // 000000004470: 923C2C06
	s_mul_i32 s62, s4, s60                                     // 000000004474: 923E3C04
	s_mul_hi_u32 s60, s4, s60                                  // 000000004478: 963C3C04
	s_and_b32 s60, s60, 0xffff                                 // 00000000447C: 863CFF3C 0000FFFF
	s_add_u32 s36, s36, s62                                    // 000000004484: 80243E24
	s_addc_u32 s37, s37, s60                                   // 000000004488: 82253C25
	s_add_u32 s40, s40, s62                                    // 00000000448C: 80283E28
	s_addc_u32 s41, s41, s60                                   // 000000004490: 82293C29
	v_lshrrev_b32_e32 v32, 5, v0                               // 000000004494: 20400085
	v_mul_i32_i24_e32 v6, s70, v32                             // 000000004498: 0C0C4046
	v_lshrrev_b32_e32 v6, 2, v6                                // 00000000449C: 200C0C82
	v_and_b32_e32 v32, 31, v0                                  // 0000000044A0: 2640009F
	v_add_u32_e32 v6, v32, v6                                  // 0000000044A4: 680C0D20
	s_mul_i32 s60, s70, 2                                      // 0000000044A8: 923C8246
	s_mul_i32 s60, s47, s60                                    // 0000000044AC: 923C3C2F
	v_add_u32_e32 v6, s60, v6                                  // 0000000044B0: 680C0C3C
	v_lshlrev_b32_e32 v6, 2, v6                                // 0000000044B4: 240C0C82
	s_mul_i32 s60, 2, s70                                      // 0000000044B8: 923C4682
	v_add_u32_e32 v7, s60, v6                                  // 0000000044BC: 680E0C3C
	v_add_u32_e32 v8, s60, v7                                  // 0000000044C0: 68100E3C
	v_add_u32_e32 v9, s60, v8                                  // 0000000044C4: 6812103C
	s_mov_b32 s72, s55                                         // 0000000044C8: BEC80037
	v_add_u32_e32 v12, s72, v9                                 // 0000000044CC: 68181248
	v_add_u32_e32 v10, s72, v8                                 // 0000000044D0: 68141048
	v_add_u32_e32 v8, s72, v7                                  // 0000000044D4: 68100E48
	v_add_u32_e32 v6, s72, v6                                  // 0000000044D8: 680C0C48
	v_mov_b32_e32 v7, 0                                        // 0000000044DC: 7E0E0280
	v_mov_b32_e32 v9, 0                                        // 0000000044E0: 7E120280
	v_mov_b32_e32 v11, 0                                       // 0000000044E4: 7E160280
	v_mov_b32_e32 v13, 0                                       // 0000000044E8: 7E1A0280
	s_mul_i32 s60, s4, s53                                     // 0000000044EC: 923C3504
	s_mul_hi_u32 s61, s4, s53                                  // 0000000044F0: 963D3504
	s_and_b32 s61, s61, 0xffff                                 // 0000000044F4: 863DFF3D 0000FFFF
	s_add_u32 s32, s32, s60                                    // 0000000044FC: 80203C20
	s_addc_u32 s33, s33, s61                                   // 000000004500: 82213D21
	s_mul_i32 s60, 3, s2                                       // 000000004504: 923C0283
	s_lshr_b32 s61, s50, 6                                     // 000000004508: 8F3D8632
	s_sub_i32 s73, s61, s60                                    // 00000000450C: 81C93C3D
	s_cmp_lt_i32 s73, 3                                        // 000000004510: BF048349
	s_cselect_b32 s73, s73, 3                                  // 000000004514: 85498349
	v_and_b32_e32 v32, 31, v0                                  // 000000004518: 2640009F
	v_lshrrev_b32_e32 v32, 1, v32                              // 00000000451C: 20404081
	v_and_b32_e32 v33, 1, v32                                  // 000000004520: 26424081
	v_lshlrev_b32_e32 v33, 4, v33                              // 000000004524: 24424284
	v_and_b32_e32 v34, 2, v32                                  // 000000004528: 26444082
	v_lshlrev_b32_e32 v34, 2, v34                              // 00000000452C: 24444482
	v_add_u32_e32 v33, v34, v33                                // 000000004530: 68424322
	v_and_b32_e32 v34, 12, v32                                 // 000000004534: 2644408C
	v_lshrrev_b32_e32 v34, 1, v34                              // 000000004538: 20444481
	v_add_u32_e32 v33, v34, v33                                // 00000000453C: 68424322
	v_lshrrev_b32_e32 v32, 5, v0                               // 000000004540: 20400085
	v_mul_i32_i24_e32 v34, 0x80, v32                           // 000000004544: 0C4440FF 00000080
	v_add_u32_e32 v33, v34, v33                                // 00000000454C: 68424322
	v_and_b32_e32 v34, 1, v0                                   // 000000004550: 26440081
	v_add_u32_e32 v17, v34, v33                                // 000000004554: 68224322
	s_mul_i32 s60, s47, 32                                     // 000000004558: 923CA02F
	v_add_u32_e32 v17, s60, v17                                // 00000000455C: 6822223C
	v_lshlrev_b32_e32 v17, 2, v17                              // 000000004560: 24222282
	v_lshrrev_b32_e32 v32, 4, v0                               // 000000004564: 20400084
	v_and_b32_e32 v33, 1, v32                                  // 000000004568: 26424081
	v_lshlrev_b32_e32 v33, 4, v33                              // 00000000456C: 24424284
	v_and_b32_e32 v34, 2, v32                                  // 000000004570: 26444082
	v_mul_i32_i24_e32 v34, 4, v34                              // 000000004574: 0C444484
	v_add_u32_e32 v33, v34, v33                                // 000000004578: 68424322
	v_and_b32_e32 v32, 15, v0                                  // 00000000457C: 2640008F
	v_lshrrev_b32_e32 v34, 2, v32                              // 000000004580: 20444082
	v_lshlrev_b32_e32 v34, 5, v34                              // 000000004584: 24444485
	v_add_u32_e32 v33, v34, v33                                // 000000004588: 68424322
	v_and_b32_e32 v32, 3, v0                                   // 00000000458C: 26400083
	v_and_b32_e32 v34, 1, v32                                  // 000000004590: 26444081
	v_mul_i32_i24_e32 v34, 0x108, v34                          // 000000004594: 0C4444FF 00000108
	v_add_u32_e32 v33, v34, v33                                // 00000000459C: 68424322
	v_and_b32_e32 v34, 2, v32                                  // 0000000045A0: 26444082
	v_lshlrev_b32_e32 v34, 1, v34                              // 0000000045A4: 24444481
	v_add_u32_e32 v16, v34, v33                                // 0000000045A8: 68204322
	v_lshlrev_b32_e32 v16, 2, v16                              // 0000000045AC: 24202082
	s_mul_i32 s60, s47, 0x880                                  // 0000000045B0: 923CFF2F 00000880
	v_add_u32_e32 v28, s60, v16                                // 0000000045B8: 6838203C
	v_lshrrev_b32_e32 v32, 5, v0                               // 0000000045BC: 20400085
	v_mul_i32_i24_e32 v19, 0x80, v32                           // 0000000045C0: 0C2640FF 00000080
	v_and_b32_e32 v32, 31, v0                                  // 0000000045C8: 2640009F
	v_and_b32_e32 v33, 7, v32                                  // 0000000045CC: 26424087
	v_and_b32_e32 v34, 1, v33                                  // 0000000045D0: 26444281
	v_lshlrev_b32_e32 v34, 2, v34                              // 0000000045D4: 24444482
	v_add_u32_e32 v19, v34, v19                                // 0000000045D8: 68262722
	v_and_b32_e32 v34, 2, v33                                  // 0000000045DC: 26444282
	v_lshlrev_b32_e32 v34, 3, v34                              // 0000000045E0: 24444483
	v_add_u32_e32 v19, v34, v19                                // 0000000045E4: 68262722
	v_and_b32_e32 v34, 4, v33                                  // 0000000045E8: 26444284
	v_lshlrev_b32_e32 v34, 1, v34                              // 0000000045EC: 24444481
	v_add_u32_e32 v19, v34, v19                                // 0000000045F0: 68262722
	v_lshrrev_b32_e32 v33, 3, v32                              // 0000000045F4: 20424083
	v_and_b32_e32 v34, 1, v33                                  // 0000000045F8: 26444281
	v_lshlrev_b32_e32 v34, 1, v34                              // 0000000045FC: 24444481
	v_add_u32_e32 v19, v34, v19                                // 000000004600: 68262722
	v_and_b32_e32 v34, 2, v33                                  // 000000004604: 26444282
	v_lshrrev_b32_e32 v34, 1, v34                              // 000000004608: 20444481
	v_add_u32_e32 v19, v34, v19                                // 00000000460C: 68262722
	s_mul_i32 s60, s47, 32                                     // 000000004610: 923CA02F
	v_add_u32_e32 v19, s60, v19                                // 000000004614: 6826263C
	v_lshlrev_b32_e32 v19, 2, v19                              // 000000004618: 24262682
	v_and_b32_e32 v32, 15, v0                                  // 00000000461C: 2640008F
	v_and_b32_e32 v34, 1, v32                                  // 000000004620: 26444081
	v_mul_i32_i24_e32 v18, 0x108, v34                          // 000000004624: 0C2444FF 00000108
	v_and_b32_e32 v34, 2, v32                                  // 00000000462C: 26444082
	v_lshlrev_b32_e32 v34, 1, v34                              // 000000004630: 24444481
	v_add_u32_e32 v18, v34, v18                                // 000000004634: 68242522
	v_and_b32_e32 v34, 4, v32                                  // 000000004638: 26444084
	v_lshlrev_b32_e32 v34, 2, v34                              // 00000000463C: 24444482
	v_add_u32_e32 v18, v34, v18                                // 000000004640: 68242522
	v_and_b32_e32 v34, 8, v32                                  // 000000004644: 26444088
	v_add_u32_e32 v18, v34, v18                                // 000000004648: 68242522
	v_lshrrev_b32_e32 v32, 4, v0                               // 00000000464C: 20400084
	v_and_b32_e32 v34, 1, v32                                  // 000000004650: 26444081
	v_lshlrev_b32_e32 v34, 5, v34                              // 000000004654: 24444485
	v_add_u32_e32 v18, v34, v18                                // 000000004658: 68242522
	v_and_b32_e32 v33, 2, v32                                  // 00000000465C: 26424082
	v_mul_i32_i24_e32 v34, 32, v33                             // 000000004660: 0C4442A0
	v_mul_i32_i24_e32 v33, 0x110, v33                          // 000000004664: 0C4242FF 00000110
	v_add_u32_e32 v29, v33, v18                                // 00000000466C: 683A2521
	v_add_u32_e32 v18, v34, v18                                // 000000004670: 68242522
	v_lshlrev_b32_e32 v18, 2, v18                              // 000000004674: 24242482
	v_lshlrev_b32_e32 v29, 2, v29                              // 000000004678: 243A3A82
	s_and_b32 s60, 1, s47                                      // 00000000467C: 863C2F81
	s_mul_i32 s60, s60, 0x200                                  // 000000004680: 923CFF3C 00000200
	v_add_u32_e32 v29, s60, v29                                // 000000004688: 683A3A3C
	v_lshrrev_b32_e32 v32, 4, v0                               // 00000000468C: 20400084
	v_mul_i32_i24_e32 v27, 4, v32                              // 000000004690: 0C364084
	v_and_b32_e32 v33, 3, v0                                   // 000000004694: 26420083
	v_add_u32_e32 v27, v33, v27                                // 000000004698: 68363721
	v_lshlrev_b32_e32 v27, 2, v27                              // 00000000469C: 24363682
	v_lshrrev_b32_e32 v32, 5, v0                               // 0000000046A0: 20400085
	v_mul_i32_i24_e32 v25, 2, v32                              // 0000000046A4: 0C324082
	v_and_b32_e32 v32, 31, v0                                  // 0000000046A8: 2640009F
	v_lshrrev_b32_e32 v32, 1, v32                              // 0000000046AC: 20404081
	v_mul_i32_i24_e32 v33, 34, v32                             // 0000000046B0: 0C4240A2
	v_add_u32_e32 v25, v33, v25                                // 0000000046B4: 68323321
	v_and_b32_e32 v33, 1, v0                                   // 0000000046B8: 26420081
	v_add_u32_e32 v25, v33, v25                                // 0000000046BC: 68323321
	s_and_b32 s60, 1, s47                                      // 0000000046C0: 863C2F81
	s_mul_i32 s60, s60, 16                                     // 0000000046C4: 923C903C
	s_lshr_b32 s61, s47, 1                                     // 0000000046C8: 8F3D812F
	s_mul_i32 s61, s61, 0x220                                  // 0000000046CC: 923DFF3D 00000220
	s_add_u32 s60, s60, s61                                    // 0000000046D4: 803C3D3C
	v_add_u32_e32 v25, s60, v25                                // 0000000046D8: 6832323C
	v_lshlrev_b32_e32 v25, 2, v25                              // 0000000046DC: 24323282
	v_lshrrev_b32_e32 v32, 4, v0                               // 0000000046E0: 20400084
	v_mul_i32_i24_e32 v26, 34, v32                             // 0000000046E4: 0C3440A2
	v_and_b32_e32 v32, 15, v0                                  // 0000000046E8: 2640008F
	v_mul_i32_i24_e32 v33, 2, v32                              // 0000000046EC: 0C424082
	v_add_u32_e32 v26, v33, v26                                // 0000000046F0: 68343521
	s_mul_i32 s60, s47, 0x110                                  // 0000000046F4: 923CFF2F 00000110
	v_add_u32_e32 v26, s60, v26                                // 0000000046FC: 6834343C
	v_lshlrev_b32_e32 v26, 2, v26                              // 000000004700: 24343482
	v_lshrrev_b32_e32 v32, 5, v0                               // 000000004704: 20400085
	v_mul_i32_i24_e32 v23, 64, v32                             // 000000004708: 0C2E40C0
	v_and_b32_e32 v32, 31, v0                                  // 00000000470C: 2640009F
	v_and_b32_e32 v32, 3, v32                                  // 000000004710: 26404083
	v_and_b32_e32 v33, 1, v32                                  // 000000004714: 26424081
	v_mul_i32_i24_e32 v33, 4, v33                              // 000000004718: 0C424284
	v_add_u32_e32 v23, v33, v23                                // 00000000471C: 682E2F21
	v_and_b32_e32 v33, 2, v32                                  // 000000004720: 26424082
	v_mul_i32_i24_e32 v33, 0x44, v33                           // 000000004724: 0C4242FF 00000044
	v_add_u32_e32 v23, v33, v23                                // 00000000472C: 682E2F21
	v_and_b32_e32 v32, 31, v0                                  // 000000004730: 2640009F
	v_lshrrev_b32_e32 v32, 2, v32                              // 000000004734: 20404082
	v_lshrrev_b32_e32 v34, 2, v32                              // 000000004738: 20444082
	v_mul_i32_i24_e32 v33, 16, v34                             // 00000000473C: 0C424490
	v_add_u32_e32 v23, v33, v23                                // 000000004740: 682E2F21
	v_and_b32_e32 v33, 2, v32                                  // 000000004744: 26424082
	v_lshlrev_b32_e32 v33, 4, v33                              // 000000004748: 24424284
	v_add_u32_e32 v23, v33, v23                                // 00000000474C: 682E2F21
	v_and_b32_e32 v33, 1, v32                                  // 000000004750: 26424081
	v_xor_b32_e32 v33, v34, v33                                // 000000004754: 2A424322
	v_mul_i32_i24_e32 v33, 8, v33                              // 000000004758: 0C424288
	v_add_u32_e32 v23, v33, v23                                // 00000000475C: 682E2F21
	s_lshr_b32 s60, s47, 1                                     // 000000004760: 8F3C812F
	s_mul_i32 s60, s60, 0x6c0                                  // 000000004764: 923CFF3C 000006C0
	v_add_u32_e32 v23, s60, v23                                // 00000000476C: 682E2E3C
	v_lshlrev_b32_e32 v23, 2, v23                              // 000000004770: 242E2E82
	v_lshrrev_b32_e32 v32, 5, v0                               // 000000004774: 20400085
	v_mul_i32_i24_e32 v24, 32, v32                             // 000000004778: 0C3040A0
	v_and_b32_e32 v32, 31, v0                                  // 00000000477C: 2640009F
	v_and_b32_e32 v32, 3, v32                                  // 000000004780: 26404083
	v_and_b32_e32 v33, 1, v32                                  // 000000004784: 26424081
	v_mul_i32_i24_e32 v33, 4, v33                              // 000000004788: 0C424284
	v_add_u32_e32 v24, v33, v24                                // 00000000478C: 68303121
	v_and_b32_e32 v33, 2, v32                                  // 000000004790: 26424082
	v_lshrrev_b32_e32 v33, 1, v33                              // 000000004794: 20424281
	v_add_u32_e32 v24, v33, v24                                // 000000004798: 68303121
	v_and_b32_e32 v32, 31, v0                                  // 00000000479C: 2640009F
	v_lshrrev_b32_e32 v32, 2, v32                              // 0000000047A0: 20404082
	v_and_b32_e32 v34, 1, v32                                  // 0000000047A4: 26444081
	v_mul_i32_i24_e32 v33, 16, v34                             // 0000000047A8: 0C424490
	v_add_u32_e32 v24, v33, v24                                // 0000000047AC: 68303121
	v_and_b32_e32 v33, 2, v32                                  // 0000000047B0: 26424082
	v_add_u32_e32 v24, v33, v24                                // 0000000047B4: 68303121
	v_lshrrev_b32_e32 v33, 2, v32                              // 0000000047B8: 20424082
	v_xor_b32_e32 v33, v34, v33                                // 0000000047BC: 2A424322
	v_mul_i32_i24_e32 v33, 8, v33                              // 0000000047C0: 0C424288
	v_add_u32_e32 v24, v33, v24                                // 0000000047C4: 68303121
	s_and_b32 s60, 1, s47                                      // 0000000047C8: 863C2F81
	s_mul_i32 s60, s60, 64                                     // 0000000047CC: 923CC03C
	s_lshr_b32 s61, s47, 1                                     // 0000000047D0: 8F3D812F
	s_mul_i32 s61, s61, 0x120                                  // 0000000047D4: 923DFF3D 00000120
	s_add_u32 s60, s60, s61                                    // 0000000047DC: 803C3D3C
	v_add_u32_e32 v24, s60, v24                                // 0000000047E0: 6830303C
	v_lshlrev_b32_e32 v24, 2, v24                              // 0000000047E4: 24303082
	buffer_load_dword v178, v1, s[12:15], 0 idxen              // 0000000047E8: E0502000 8003B201
	buffer_load_dword v179, v2, s[12:15], 0 idxen              // 0000000047F0: E0502000 8003B302
	s_mul_i32 s60, 16, s7                                      // 0000000047F8: 923C0790
	s_cmp_lt_i32 0, s73                                        // 0000000047FC: BF044980
	s_cselect_b32 s60, s60, 0                                  // 000000004800: 853C803C
	s_add_u32 s12, s60, s12                                    // 000000004804: 800C0C3C
	s_addc_u32 s13, 0, s13                                     // 000000004808: 820D0D80
	buffer_load_dword v180, v1, s[12:15], 0 idxen              // 00000000480C: E0502000 8003B401
	buffer_load_dword v181, v2, s[12:15], 0 idxen              // 000000004814: E0502000 8003B502
	s_mul_i32 s60, 16, s7                                      // 00000000481C: 923C0790
	s_cmp_lt_i32 0, s73                                        // 000000004820: BF044980
	s_cselect_b32 s60, s60, 0                                  // 000000004824: 853C803C
	s_add_u32 s12, s60, s12                                    // 000000004828: 800C0C3C
	s_addc_u32 s13, 0, s13                                     // 00000000482C: 820D0D80
	buffer_load_dword v182, v1, s[12:15], 0 idxen              // 000000004830: E0502000 8003B601
	buffer_load_dword v183, v2, s[12:15], 0 idxen              // 000000004838: E0502000 8003B702
	s_mul_i32 s60, 16, s7                                      // 000000004840: 923C0790
	s_cmp_lt_i32 0, s73                                        // 000000004844: BF044980
	s_cselect_b32 s60, s60, 0                                  // 000000004848: 853C803C
	s_add_u32 s12, s60, s12                                    // 00000000484C: 800C0C3C
	s_addc_u32 s13, 0, s13                                     // 000000004850: 820D0D80
	buffer_load_dword v184, v1, s[12:15], 0 idxen              // 000000004854: E0502000 8003B801
	buffer_load_dword v185, v2, s[12:15], 0 idxen              // 00000000485C: E0502000 8003B902
	s_mul_i32 s60, 16, s7                                      // 000000004864: 923C0790
	s_cmp_lt_i32 1, s73                                        // 000000004868: BF044981
	s_cselect_b32 s60, s60, 0                                  // 00000000486C: 853C803C
	s_add_u32 s12, s60, s12                                    // 000000004870: 800C0C3C
	s_addc_u32 s13, 0, s13                                     // 000000004874: 820D0D80
	buffer_load_dword v186, v1, s[12:15], 0 idxen              // 000000004878: E0502000 8003BA01
	buffer_load_dword v187, v2, s[12:15], 0 idxen              // 000000004880: E0502000 8003BB02
	s_mul_i32 s60, 16, s7                                      // 000000004888: 923C0790
	s_cmp_lt_i32 1, s73                                        // 00000000488C: BF044981
	s_cselect_b32 s60, s60, 0                                  // 000000004890: 853C803C
	s_add_u32 s12, s60, s12                                    // 000000004894: 800C0C3C
	s_addc_u32 s13, 0, s13                                     // 000000004898: 820D0D80
	buffer_load_dword v188, v1, s[12:15], 0 idxen              // 00000000489C: E0502000 8003BC01
	buffer_load_dword v189, v2, s[12:15], 0 idxen              // 0000000048A4: E0502000 8003BD02
	s_mul_i32 s60, 16, s7                                      // 0000000048AC: 923C0790
	s_cmp_lt_i32 1, s73                                        // 0000000048B0: BF044981
	s_cselect_b32 s60, s60, 0                                  // 0000000048B4: 853C803C
	s_add_u32 s12, s60, s12                                    // 0000000048B8: 800C0C3C
	s_addc_u32 s13, 0, s13                                     // 0000000048BC: 820D0D80
	buffer_load_dword v190, v1, s[12:15], 0 idxen              // 0000000048C0: E0502000 8003BE01
	buffer_load_dword v191, v2, s[12:15], 0 idxen              // 0000000048C8: E0502000 8003BF02
	s_mul_i32 s60, 16, s7                                      // 0000000048D0: 923C0790
	s_cmp_lt_i32 1, s73                                        // 0000000048D4: BF044981
	s_cselect_b32 s60, s60, 0                                  // 0000000048D8: 853C803C
	s_add_u32 s12, s60, s12                                    // 0000000048DC: 800C0C3C
	s_addc_u32 s13, 0, s13                                     // 0000000048E0: 820D0D80
	buffer_load_dword v192, v1, s[12:15], 0 idxen              // 0000000048E4: E0502000 8003C001
	buffer_load_dword v193, v2, s[12:15], 0 idxen              // 0000000048EC: E0502000 8003C102
	s_mul_i32 s60, 16, s7                                      // 0000000048F4: 923C0790
	s_cmp_lt_i32 2, s73                                        // 0000000048F8: BF044982
	s_cselect_b32 s60, s60, 0                                  // 0000000048FC: 853C803C
	s_add_u32 s12, s60, s12                                    // 000000004900: 800C0C3C
	s_addc_u32 s13, 0, s13                                     // 000000004904: 820D0D80
	buffer_load_dword v194, v1, s[12:15], 0 idxen              // 000000004908: E0502000 8003C201
	buffer_load_dword v195, v2, s[12:15], 0 idxen              // 000000004910: E0502000 8003C302
	s_mul_i32 s60, 16, s7                                      // 000000004918: 923C0790
	s_cmp_lt_i32 2, s73                                        // 00000000491C: BF044982
	s_cselect_b32 s60, s60, 0                                  // 000000004920: 853C803C
	s_add_u32 s12, s60, s12                                    // 000000004924: 800C0C3C
	s_addc_u32 s13, 0, s13                                     // 000000004928: 820D0D80
	buffer_load_dword v196, v1, s[12:15], 0 idxen              // 00000000492C: E0502000 8003C401
	buffer_load_dword v197, v2, s[12:15], 0 idxen              // 000000004934: E0502000 8003C502
	s_mul_i32 s60, 16, s7                                      // 00000000493C: 923C0790
	s_cmp_lt_i32 2, s73                                        // 000000004940: BF044982
	s_cselect_b32 s60, s60, 0                                  // 000000004944: 853C803C
	s_add_u32 s12, s60, s12                                    // 000000004948: 800C0C3C
	s_addc_u32 s13, 0, s13                                     // 00000000494C: 820D0D80
	buffer_load_dword v198, v1, s[12:15], 0 idxen              // 000000004950: E0502000 8003C601
	buffer_load_dword v199, v2, s[12:15], 0 idxen              // 000000004958: E0502000 8003C702
	s_mul_i32 s60, 16, s7                                      // 000000004960: 923C0790
	s_cmp_lt_i32 2, s73                                        // 000000004964: BF044982
	s_cselect_b32 s60, s60, 0                                  // 000000004968: 853C803C
	s_add_u32 s12, s60, s12                                    // 00000000496C: 800C0C3C
	s_addc_u32 s13, 0, s13                                     // 000000004970: 820D0D80
	buffer_load_dword v200, v1, s[12:15], 0 idxen              // 000000004974: E0502000 8003C801
	buffer_load_dword v201, v2, s[12:15], 0 idxen              // 00000000497C: E0502000 8003C902
	s_mul_i32 s60, 16, s7                                      // 000000004984: 923C0790
	s_cmp_lt_i32 3, s73                                        // 000000004988: BF044983
	s_cselect_b32 s60, s60, 0                                  // 00000000498C: 853C803C
	s_add_u32 s12, s60, s12                                    // 000000004990: 800C0C3C
	s_addc_u32 s13, 0, s13                                     // 000000004994: 820D0D80
	s_waitcnt vmcnt(16) lgkmcnt(0)                             // 000000004998: BF8C4070
	s_barrier                                                  // 00000000499C: BF8A0000
	s_cmp_lt_i32 0, s73                                        // 0000000049A0: BF044980
	s_cbranch_scc1 label_0272                                  // 0000000049A4: BF850008
	v_mov_b32_e32 v178, 0                                      // 0000000049A8: 7F640280
	v_mov_b32_e32 v179, 0                                      // 0000000049AC: 7F660280
	v_mov_b32_e32 v180, 0                                      // 0000000049B0: 7F680280
	v_mov_b32_e32 v181, 0                                      // 0000000049B4: 7F6A0280
	v_mov_b32_e32 v182, 0                                      // 0000000049B8: 7F6C0280
	v_mov_b32_e32 v183, 0                                      // 0000000049BC: 7F6E0280
	v_mov_b32_e32 v184, 0                                      // 0000000049C0: 7F700280
	v_mov_b32_e32 v185, 0                                      // 0000000049C4: 7F720280

00000000000049c8 <label_0272>:
	v_perm_b32 v202, v179, v178, s63                           // 0000000049C8: D1ED00CA 00FF65B3
	v_perm_b32 v203, v179, v178, s64                           // 0000000049D0: D1ED00CB 010365B3
	v_perm_b32 v204, v181, v180, s63                           // 0000000049D8: D1ED00CC 00FF69B5
	v_perm_b32 v205, v181, v180, s64                           // 0000000049E0: D1ED00CD 010369B5
	v_perm_b32 v206, v183, v182, s63                           // 0000000049E8: D1ED00CE 00FF6DB7
	v_perm_b32 v207, v183, v182, s64                           // 0000000049F0: D1ED00CF 01036DB7
	v_perm_b32 v208, v185, v184, s63                           // 0000000049F8: D1ED00D0 00FF71B9
	v_perm_b32 v209, v185, v184, s64                           // 000000004A00: D1ED00D1 010371B9
	ds_write_b32 v19, v202 offset:8704                         // 000000004A08: D81A2200 0000CA13
	ds_write_b32 v19, v203 offset:9760                         // 000000004A10: D81A2620 0000CB13
	ds_write_b32 v19, v204 offset:10880                        // 000000004A18: D81A2A80 0000CC13
	ds_write_b32 v19, v205 offset:11936                        // 000000004A20: D81A2EA0 0000CD13
	ds_write_b32 v19, v206 offset:13056                        // 000000004A28: D81A3300 0000CE13
	ds_write_b32 v19, v207 offset:14112                        // 000000004A30: D81A3720 0000CF13
	ds_write_b32 v19, v208 offset:15232                        // 000000004A38: D81A3B80 0000D013
	ds_write_b32 v19, v209 offset:16288                        // 000000004A40: D81A3FA0 0000D113
	ds_write_b32 v17, v178                                     // 000000004A48: D81A0000 0000B211
	ds_write_b32 v17, v179 offset:1056                         // 000000004A50: D81A0420 0000B311
	ds_write_b32 v17, v180 offset:2176                         // 000000004A58: D81A0880 0000B411
	ds_write_b32 v17, v181 offset:3232                         // 000000004A60: D81A0CA0 0000B511
	ds_write_b32 v17, v182 offset:4352                         // 000000004A68: D81A1100 0000B611
	ds_write_b32 v17, v183 offset:5408                         // 000000004A70: D81A1520 0000B711
	ds_write_b32 v17, v184 offset:6528                         // 000000004A78: D81A1980 0000B811
	ds_write_b32 v17, v185 offset:7584                         // 000000004A80: D81A1DA0 0000B911
	buffer_load_dword v178, v1, s[16:19], 0 idxen              // 000000004A88: E0502000 8004B201
	buffer_load_dword v179, v2, s[16:19], 0 idxen              // 000000004A90: E0502000 8004B302
	s_mul_i32 s60, 16, s7                                      // 000000004A98: 923C0790
	s_cmp_lt_i32 0, s73                                        // 000000004A9C: BF044980
	s_cselect_b32 s60, s60, 0                                  // 000000004AA0: 853C803C
	s_add_u32 s16, s60, s16                                    // 000000004AA4: 8010103C
	s_addc_u32 s17, 0, s17                                     // 000000004AA8: 82111180
	buffer_load_dword v180, v1, s[16:19], 0 idxen              // 000000004AAC: E0502000 8004B401
	buffer_load_dword v181, v2, s[16:19], 0 idxen              // 000000004AB4: E0502000 8004B502
	s_mul_i32 s60, 16, s7                                      // 000000004ABC: 923C0790
	s_cmp_lt_i32 0, s73                                        // 000000004AC0: BF044980
	s_cselect_b32 s60, s60, 0                                  // 000000004AC4: 853C803C
	s_add_u32 s16, s60, s16                                    // 000000004AC8: 8010103C
	s_addc_u32 s17, 0, s17                                     // 000000004ACC: 82111180
	buffer_load_dword v182, v1, s[16:19], 0 idxen              // 000000004AD0: E0502000 8004B601
	buffer_load_dword v183, v2, s[16:19], 0 idxen              // 000000004AD8: E0502000 8004B702
	s_mul_i32 s60, 16, s7                                      // 000000004AE0: 923C0790
	s_cmp_lt_i32 0, s73                                        // 000000004AE4: BF044980
	s_cselect_b32 s60, s60, 0                                  // 000000004AE8: 853C803C
	s_add_u32 s16, s60, s16                                    // 000000004AEC: 8010103C
	s_addc_u32 s17, 0, s17                                     // 000000004AF0: 82111180
	buffer_load_dword v184, v1, s[16:19], 0 idxen              // 000000004AF4: E0502000 8004B801
	buffer_load_dword v185, v2, s[16:19], 0 idxen              // 000000004AFC: E0502000 8004B902
	s_mul_i32 s60, 16, s7                                      // 000000004B04: 923C0790
	s_cmp_lt_i32 1, s73                                        // 000000004B08: BF044981
	s_cselect_b32 s60, s60, 0                                  // 000000004B0C: 853C803C
	s_add_u32 s16, s60, s16                                    // 000000004B10: 8010103C
	s_addc_u32 s17, 0, s17                                     // 000000004B14: 82111180
	s_waitcnt lgkmcnt(0)                                       // 000000004B18: BF8CC07F
	s_barrier                                                  // 000000004B1C: BF8A0000
	ds_read_b128 a[24:27], v29 offset:8704                     // 000000004B20: DBFE2200 1800001D
	ds_read_b128 a[28:31], v29 offset:8960                     // 000000004B28: DBFE2300 1C00001D
	ds_read_b128 a[32:35], v29 offset:13056                    // 000000004B30: DBFE3300 2000001D
	ds_read_b128 a[36:39], v29 offset:13312                    // 000000004B38: DBFE3400 2400001D
	ds_read_b128 a[0:3], v28                                   // 000000004B40: DBFE0000 0000001C
	ds_read_b128 a[4:7], v28 offset:512                        // 000000004B48: DBFE0200 0400001C
	s_waitcnt vmcnt(16) lgkmcnt(0)                             // 000000004B50: BF8C4070
	s_barrier                                                  // 000000004B54: BF8A0000
	s_cmp_lt_i32 1, s73                                        // 000000004B58: BF044981
	s_cbranch_scc1 label_02E0                                  // 000000004B5C: BF850008
	v_mov_b32_e32 v186, 0                                      // 000000004B60: 7F740280
	v_mov_b32_e32 v187, 0                                      // 000000004B64: 7F760280
	v_mov_b32_e32 v188, 0                                      // 000000004B68: 7F780280
	v_mov_b32_e32 v189, 0                                      // 000000004B6C: 7F7A0280
	v_mov_b32_e32 v190, 0                                      // 000000004B70: 7F7C0280
	v_mov_b32_e32 v191, 0                                      // 000000004B74: 7F7E0280
	v_mov_b32_e32 v192, 0                                      // 000000004B78: 7F800280
	v_mov_b32_e32 v193, 0                                      // 000000004B7C: 7F820280

0000000000004b80 <label_02E0>:
	v_perm_b32 v202, v187, v186, s63                           // 000000004B80: D1ED00CA 00FF75BB
	v_perm_b32 v203, v187, v186, s64                           // 000000004B88: D1ED00CB 010375BB
	v_perm_b32 v204, v189, v188, s63                           // 000000004B90: D1ED00CC 00FF79BD
	v_perm_b32 v205, v189, v188, s64                           // 000000004B98: D1ED00CD 010379BD
	v_perm_b32 v206, v191, v190, s63                           // 000000004BA0: D1ED00CE 00FF7DBF
	v_perm_b32 v207, v191, v190, s64                           // 000000004BA8: D1ED00CF 01037DBF
	v_perm_b32 v208, v193, v192, s63                           // 000000004BB0: D1ED00D0 00FF81C1
	v_perm_b32 v209, v193, v192, s64                           // 000000004BB8: D1ED00D1 010381C1
	ds_write_b32 v19, v202 offset:8704                         // 000000004BC0: D81A2200 0000CA13
	ds_write_b32 v19, v203 offset:9760                         // 000000004BC8: D81A2620 0000CB13
	ds_write_b32 v19, v204 offset:10880                        // 000000004BD0: D81A2A80 0000CC13
	ds_write_b32 v19, v205 offset:11936                        // 000000004BD8: D81A2EA0 0000CD13
	ds_write_b32 v19, v206 offset:13056                        // 000000004BE0: D81A3300 0000CE13
	ds_write_b32 v19, v207 offset:14112                        // 000000004BE8: D81A3720 0000CF13
	ds_write_b32 v19, v208 offset:15232                        // 000000004BF0: D81A3B80 0000D013
	ds_write_b32 v19, v209 offset:16288                        // 000000004BF8: D81A3FA0 0000D113
	ds_write_b32 v17, v186                                     // 000000004C00: D81A0000 0000BA11
	ds_write_b32 v17, v187 offset:1056                         // 000000004C08: D81A0420 0000BB11
	ds_write_b32 v17, v188 offset:2176                         // 000000004C10: D81A0880 0000BC11
	ds_write_b32 v17, v189 offset:3232                         // 000000004C18: D81A0CA0 0000BD11
	ds_write_b32 v17, v190 offset:4352                         // 000000004C20: D81A1100 0000BE11
	ds_write_b32 v17, v191 offset:5408                         // 000000004C28: D81A1520 0000BF11
	ds_write_b32 v17, v192 offset:6528                         // 000000004C30: D81A1980 0000C011
	ds_write_b32 v17, v193 offset:7584                         // 000000004C38: D81A1DA0 0000C111
	buffer_load_dword v186, v1, s[16:19], 0 idxen              // 000000004C40: E0502000 8004BA01
	buffer_load_dword v187, v2, s[16:19], 0 idxen              // 000000004C48: E0502000 8004BB02
	s_mul_i32 s60, 16, s7                                      // 000000004C50: 923C0790
	s_cmp_lt_i32 1, s73                                        // 000000004C54: BF044981
	s_cselect_b32 s60, s60, 0                                  // 000000004C58: 853C803C
	s_add_u32 s16, s60, s16                                    // 000000004C5C: 8010103C
	s_addc_u32 s17, 0, s17                                     // 000000004C60: 82111180
	buffer_load_dword v188, v1, s[16:19], 0 idxen              // 000000004C64: E0502000 8004BC01
	buffer_load_dword v189, v2, s[16:19], 0 idxen              // 000000004C6C: E0502000 8004BD02
	s_mul_i32 s60, 16, s7                                      // 000000004C74: 923C0790
	s_cmp_lt_i32 1, s73                                        // 000000004C78: BF044981
	s_cselect_b32 s60, s60, 0                                  // 000000004C7C: 853C803C
	s_add_u32 s16, s60, s16                                    // 000000004C80: 8010103C
	s_addc_u32 s17, 0, s17                                     // 000000004C84: 82111180
	buffer_load_dword v190, v1, s[16:19], 0 idxen              // 000000004C88: E0502000 8004BE01
	buffer_load_dword v191, v2, s[16:19], 0 idxen              // 000000004C90: E0502000 8004BF02
	s_mul_i32 s60, 16, s7                                      // 000000004C98: 923C0790
	s_cmp_lt_i32 1, s73                                        // 000000004C9C: BF044981
	s_cselect_b32 s60, s60, 0                                  // 000000004CA0: 853C803C
	s_add_u32 s16, s60, s16                                    // 000000004CA4: 8010103C
	s_addc_u32 s17, 0, s17                                     // 000000004CA8: 82111180
	buffer_load_dword v192, v1, s[16:19], 0 idxen              // 000000004CAC: E0502000 8004C001
	buffer_load_dword v193, v2, s[16:19], 0 idxen              // 000000004CB4: E0502000 8004C102
	s_mul_i32 s60, 16, s7                                      // 000000004CBC: 923C0790
	s_cmp_lt_i32 2, s73                                        // 000000004CC0: BF044982
	s_cselect_b32 s60, s60, 0                                  // 000000004CC4: 853C803C
	s_add_u32 s16, s60, s16                                    // 000000004CC8: 8010103C
	s_addc_u32 s17, 0, s17                                     // 000000004CCC: 82111180
	s_waitcnt lgkmcnt(0)                                       // 000000004CD0: BF8CC07F
	s_barrier                                                  // 000000004CD4: BF8A0000
	ds_read_b128 a[40:43], v29 offset:8704                     // 000000004CD8: DBFE2200 2800001D
	ds_read_b128 a[44:47], v29 offset:8960                     // 000000004CE0: DBFE2300 2C00001D
	ds_read_b128 a[48:51], v29 offset:13056                    // 000000004CE8: DBFE3300 3000001D
	ds_read_b128 a[52:55], v29 offset:13312                    // 000000004CF0: DBFE3400 3400001D
	ds_read_b128 a[8:11], v28                                  // 000000004CF8: DBFE0000 0800001C
	ds_read_b128 a[12:15], v28 offset:512                      // 000000004D00: DBFE0200 0C00001C
	s_waitcnt vmcnt(16) lgkmcnt(0)                             // 000000004D08: BF8C4070
	s_barrier                                                  // 000000004D0C: BF8A0000
	s_cmp_lt_i32 2, s73                                        // 000000004D10: BF044982
	s_cbranch_scc1 label_034E                                  // 000000004D14: BF850008
	v_mov_b32_e32 v194, 0                                      // 000000004D18: 7F840280
	v_mov_b32_e32 v195, 0                                      // 000000004D1C: 7F860280
	v_mov_b32_e32 v196, 0                                      // 000000004D20: 7F880280
	v_mov_b32_e32 v197, 0                                      // 000000004D24: 7F8A0280
	v_mov_b32_e32 v198, 0                                      // 000000004D28: 7F8C0280
	v_mov_b32_e32 v199, 0                                      // 000000004D2C: 7F8E0280
	v_mov_b32_e32 v200, 0                                      // 000000004D30: 7F900280
	v_mov_b32_e32 v201, 0                                      // 000000004D34: 7F920280

0000000000004d38 <label_034E>:
	v_perm_b32 v202, v195, v194, s63                           // 000000004D38: D1ED00CA 00FF85C3
	v_perm_b32 v203, v195, v194, s64                           // 000000004D40: D1ED00CB 010385C3
	v_perm_b32 v204, v197, v196, s63                           // 000000004D48: D1ED00CC 00FF89C5
	v_perm_b32 v205, v197, v196, s64                           // 000000004D50: D1ED00CD 010389C5
	v_perm_b32 v206, v199, v198, s63                           // 000000004D58: D1ED00CE 00FF8DC7
	v_perm_b32 v207, v199, v198, s64                           // 000000004D60: D1ED00CF 01038DC7
	v_perm_b32 v208, v201, v200, s63                           // 000000004D68: D1ED00D0 00FF91C9
	v_perm_b32 v209, v201, v200, s64                           // 000000004D70: D1ED00D1 010391C9
	ds_write_b32 v19, v202 offset:8704                         // 000000004D78: D81A2200 0000CA13
	ds_write_b32 v19, v203 offset:9760                         // 000000004D80: D81A2620 0000CB13
	ds_write_b32 v19, v204 offset:10880                        // 000000004D88: D81A2A80 0000CC13
	ds_write_b32 v19, v205 offset:11936                        // 000000004D90: D81A2EA0 0000CD13
	ds_write_b32 v19, v206 offset:13056                        // 000000004D98: D81A3300 0000CE13
	ds_write_b32 v19, v207 offset:14112                        // 000000004DA0: D81A3720 0000CF13
	ds_write_b32 v19, v208 offset:15232                        // 000000004DA8: D81A3B80 0000D013
	ds_write_b32 v19, v209 offset:16288                        // 000000004DB0: D81A3FA0 0000D113
	ds_write_b32 v17, v194                                     // 000000004DB8: D81A0000 0000C211
	ds_write_b32 v17, v195 offset:1056                         // 000000004DC0: D81A0420 0000C311
	ds_write_b32 v17, v196 offset:2176                         // 000000004DC8: D81A0880 0000C411
	ds_write_b32 v17, v197 offset:3232                         // 000000004DD0: D81A0CA0 0000C511
	ds_write_b32 v17, v198 offset:4352                         // 000000004DD8: D81A1100 0000C611
	ds_write_b32 v17, v199 offset:5408                         // 000000004DE0: D81A1520 0000C711
	ds_write_b32 v17, v200 offset:6528                         // 000000004DE8: D81A1980 0000C811
	ds_write_b32 v17, v201 offset:7584                         // 000000004DF0: D81A1DA0 0000C911
	buffer_load_dword v194, v1, s[16:19], 0 idxen              // 000000004DF8: E0502000 8004C201
	buffer_load_dword v195, v2, s[16:19], 0 idxen              // 000000004E00: E0502000 8004C302
	s_mul_i32 s60, 16, s7                                      // 000000004E08: 923C0790
	s_cmp_lt_i32 2, s73                                        // 000000004E0C: BF044982
	s_cselect_b32 s60, s60, 0                                  // 000000004E10: 853C803C
	s_add_u32 s16, s60, s16                                    // 000000004E14: 8010103C
	s_addc_u32 s17, 0, s17                                     // 000000004E18: 82111180
	buffer_load_dword v196, v1, s[16:19], 0 idxen              // 000000004E1C: E0502000 8004C401
	buffer_load_dword v197, v2, s[16:19], 0 idxen              // 000000004E24: E0502000 8004C502
	s_mul_i32 s60, 16, s7                                      // 000000004E2C: 923C0790
	s_cmp_lt_i32 2, s73                                        // 000000004E30: BF044982
	s_cselect_b32 s60, s60, 0                                  // 000000004E34: 853C803C
	s_add_u32 s16, s60, s16                                    // 000000004E38: 8010103C
	s_addc_u32 s17, 0, s17                                     // 000000004E3C: 82111180
	buffer_load_dword v198, v1, s[16:19], 0 idxen              // 000000004E40: E0502000 8004C601
	buffer_load_dword v199, v2, s[16:19], 0 idxen              // 000000004E48: E0502000 8004C702
	s_mul_i32 s60, 16, s7                                      // 000000004E50: 923C0790
	s_cmp_lt_i32 2, s73                                        // 000000004E54: BF044982
	s_cselect_b32 s60, s60, 0                                  // 000000004E58: 853C803C
	s_add_u32 s16, s60, s16                                    // 000000004E5C: 8010103C
	s_addc_u32 s17, 0, s17                                     // 000000004E60: 82111180
	buffer_load_dword v200, v1, s[16:19], 0 idxen              // 000000004E64: E0502000 8004C801
	buffer_load_dword v201, v2, s[16:19], 0 idxen              // 000000004E6C: E0502000 8004C902
	s_mul_i32 s60, 16, s7                                      // 000000004E74: 923C0790
	s_cmp_lt_i32 3, s73                                        // 000000004E78: BF044983
	s_cselect_b32 s60, s60, 0                                  // 000000004E7C: 853C803C
	s_add_u32 s16, s60, s16                                    // 000000004E80: 8010103C
	s_addc_u32 s17, 0, s17                                     // 000000004E84: 82111180
	s_waitcnt lgkmcnt(0)                                       // 000000004E88: BF8CC07F
	s_barrier                                                  // 000000004E8C: BF8A0000
	ds_read_b128 a[56:59], v29 offset:8704                     // 000000004E90: DBFE2200 3800001D
	ds_read_b128 a[60:63], v29 offset:8960                     // 000000004E98: DBFE2300 3C00001D
	ds_read_b128 a[64:67], v29 offset:13056                    // 000000004EA0: DBFE3300 4000001D
	ds_read_b128 a[68:71], v29 offset:13312                    // 000000004EA8: DBFE3400 4400001D
	ds_read_b128 a[16:19], v28                                 // 000000004EB0: DBFE0000 1000001C
	ds_read_b128 a[20:23], v28 offset:512                      // 000000004EB8: DBFE0200 1400001C
	s_waitcnt vmcnt(16) lgkmcnt(0)                             // 000000004EC0: BF8C4070
	s_barrier                                                  // 000000004EC4: BF8A0000
	s_cmp_lt_i32 0, s73                                        // 000000004EC8: BF044980
	s_cbranch_scc1 label_03BC                                  // 000000004ECC: BF850008
	v_mov_b32_e32 v178, 0                                      // 000000004ED0: 7F640280
	v_mov_b32_e32 v179, 0                                      // 000000004ED4: 7F660280
	v_mov_b32_e32 v180, 0                                      // 000000004ED8: 7F680280
	v_mov_b32_e32 v181, 0                                      // 000000004EDC: 7F6A0280
	v_mov_b32_e32 v182, 0                                      // 000000004EE0: 7F6C0280
	v_mov_b32_e32 v183, 0                                      // 000000004EE4: 7F6E0280
	v_mov_b32_e32 v184, 0                                      // 000000004EE8: 7F700280
	v_mov_b32_e32 v185, 0                                      // 000000004EEC: 7F720280

0000000000004ef0 <label_03BC>:
	ds_write_b32 v17, v178                                     // 000000004EF0: D81A0000 0000B211
	ds_write_b32 v17, v179 offset:1056                         // 000000004EF8: D81A0420 0000B311
	ds_write_b32 v17, v180 offset:2176                         // 000000004F00: D81A0880 0000B411
	ds_write_b32 v17, v181 offset:3232                         // 000000004F08: D81A0CA0 0000B511
	ds_write_b32 v17, v182 offset:4352                         // 000000004F10: D81A1100 0000B611
	ds_write_b32 v17, v183 offset:5408                         // 000000004F18: D81A1520 0000B711
	ds_write_b32 v17, v184 offset:6528                         // 000000004F20: D81A1980 0000B811
	ds_write_b32 v17, v185 offset:7584                         // 000000004F28: D81A1DA0 0000B911
	s_mov_b32 s71, s70                                         // 000000004F30: BEC70046
	v_lshrrev_b32_e32 v32, 4, v0                               // 000000004F34: 20400084
	v_and_b32_e32 v33, 1, v32                                  // 000000004F38: 26424081
	v_lshlrev_b32_e32 v33, 1, v33                              // 000000004F3C: 24424281
	v_mul_i32_i24_e32 v33, s71, v33                            // 000000004F40: 0C424247
	v_and_b32_e32 v34, 2, v32                                  // 000000004F44: 26444082
	v_lshlrev_b32_e32 v34, 5, v34                              // 000000004F48: 24444485
	v_add_u32_e32 v33, v34, v33                                // 000000004F4C: 68424322
	v_and_b32_e32 v32, 15, v0                                  // 000000004F50: 2640008F
	v_lshlrev_b32_e32 v32, 2, v32                              // 000000004F54: 24404082
	v_add_u32_e32 v1, v32, v33                                 // 000000004F58: 68024320
	s_mul_i32 s60, s47, s71                                    // 000000004F5C: 923C472F
	s_mul_i32 s60, s60, 4                                      // 000000004F60: 923C843C
	v_add_u32_e32 v1, s60, v1                                  // 000000004F64: 6802023C
	v_add_u32_e32 v2, s71, v1                                  // 000000004F68: 68040247
	s_mul_i32 s60, 16, s71                                     // 000000004F6C: 923C4790
	v_add_u32_e32 v3, s60, v1                                  // 000000004F70: 6806023C
	v_add_u32_e32 v4, s60, v2                                  // 000000004F74: 6808043C
	v_lshrrev_b32_e32 v1, 2, v1                                // 000000004F78: 20020282
	v_lshrrev_b32_e32 v2, 2, v2                                // 000000004F7C: 20040482
	v_lshrrev_b32_e32 v3, 2, v3                                // 000000004F80: 20060682
	v_lshrrev_b32_e32 v4, 2, v4                                // 000000004F84: 20080882
	buffer_load_dword v36, v1, s[8:11], 0 idxen                // 000000004F88: E0502000 80022401
	buffer_load_dword v37, v2, s[8:11], 0 idxen                // 000000004F90: E0502000 80022502
	buffer_load_dword v38, v3, s[8:11], 0 idxen                // 000000004F98: E0502000 80022603
	buffer_load_dword v39, v4, s[8:11], 0 idxen                // 000000004FA0: E0502000 80022704
	buffer_load_dword v44, v1, s[20:23], 0 idxen               // 000000004FA8: E0502000 80052C01
	buffer_load_dword v45, v2, s[20:23], 0 idxen               // 000000004FB0: E0502000 80052D02
	buffer_load_dword v46, v3, s[20:23], 0 idxen               // 000000004FB8: E0502000 80052E03
	buffer_load_dword v47, v4, s[20:23], 0 idxen               // 000000004FC0: E0502000 80052F04
	s_waitcnt lgkmcnt(0)                                       // 000000004FC8: BF8CC07F
	s_barrier                                                  // 000000004FCC: BF8A0000
	ds_read_b128 a[72:75], v28                                 // 000000004FD0: DBFE0000 4800001C
	ds_read_b128 a[76:79], v28 offset:512                      // 000000004FD8: DBFE0200 4C00001C
	s_add_u32 s8, s68, s8                                      // 000000004FE0: 80080844
	s_addc_u32 s9, 0, s9                                       // 000000004FE4: 82090980
	s_add_u32 s20, s68, s20                                    // 000000004FE8: 80141444
	s_addc_u32 s21, 0, s21                                     // 000000004FEC: 82151580
	s_waitcnt vmcnt(16) lgkmcnt(0)                             // 000000004FF0: BF8C4070
	s_barrier                                                  // 000000004FF4: BF8A0000
	s_cmp_lt_i32 1, s73                                        // 000000004FF8: BF044981
	s_cbranch_scc1 label_0408                                  // 000000004FFC: BF850008
	v_mov_b32_e32 v186, 0                                      // 000000005000: 7F740280
	v_mov_b32_e32 v187, 0                                      // 000000005004: 7F760280
	v_mov_b32_e32 v188, 0                                      // 000000005008: 7F780280
	v_mov_b32_e32 v189, 0                                      // 00000000500C: 7F7A0280
	v_mov_b32_e32 v190, 0                                      // 000000005010: 7F7C0280
	v_mov_b32_e32 v191, 0                                      // 000000005014: 7F7E0280
	v_mov_b32_e32 v192, 0                                      // 000000005018: 7F800280
	v_mov_b32_e32 v193, 0                                      // 00000000501C: 7F820280

0000000000005020 <label_0408>:
	ds_write_b32 v17, v186                                     // 000000005020: D81A0000 0000BA11
	ds_write_b32 v17, v187 offset:1056                         // 000000005028: D81A0420 0000BB11
	ds_write_b32 v17, v188 offset:2176                         // 000000005030: D81A0880 0000BC11
	ds_write_b32 v17, v189 offset:3232                         // 000000005038: D81A0CA0 0000BD11
	ds_write_b32 v17, v190 offset:4352                         // 000000005040: D81A1100 0000BE11
	ds_write_b32 v17, v191 offset:5408                         // 000000005048: D81A1520 0000BF11
	ds_write_b32 v17, v192 offset:6528                         // 000000005050: D81A1980 0000C011
	ds_write_b32 v17, v193 offset:7584                         // 000000005058: D81A1DA0 0000C111
	buffer_load_dword v40, v1, s[8:11], 0 idxen                // 000000005060: E0502000 80022801
	buffer_load_dword v41, v2, s[8:11], 0 idxen                // 000000005068: E0502000 80022902
	buffer_load_dword v42, v3, s[8:11], 0 idxen                // 000000005070: E0502000 80022A03
	buffer_load_dword v43, v4, s[8:11], 0 idxen                // 000000005078: E0502000 80022B04
	buffer_load_dword v48, v1, s[20:23], 0 idxen               // 000000005080: E0502000 80053001
	buffer_load_dword v49, v2, s[20:23], 0 idxen               // 000000005088: E0502000 80053102
	;; [unrolled: 1-line block ×4, first 2 shown]
	s_waitcnt lgkmcnt(0)                                       // 0000000050A0: BF8CC07F
	s_barrier                                                  // 0000000050A4: BF8A0000
	ds_read_b128 a[80:83], v28                                 // 0000000050A8: DBFE0000 5000001C
	ds_read_b128 a[84:87], v28 offset:512                      // 0000000050B0: DBFE0200 5400001C
	s_add_u32 s60, 64, s59                                     // 0000000050B8: 803C3BC0
	s_cmp_lt_u32 s60, s58                                      // 0000000050BC: BF0A3A3C
	s_cselect_b32 s68, s68, 0                                  // 0000000050C0: 85448044
	s_add_u32 s8, s68, s8                                      // 0000000050C4: 80080844
	s_addc_u32 s9, 0, s9                                       // 0000000050C8: 82090980
	s_add_u32 s20, s68, s20                                    // 0000000050CC: 80141444
	s_addc_u32 s21, 0, s21                                     // 0000000050D0: 82151580
	s_waitcnt vmcnt(16) lgkmcnt(0)                             // 0000000050D4: BF8C4070
	s_barrier                                                  // 0000000050D8: BF8A0000
	s_cmp_lt_i32 2, s73                                        // 0000000050DC: BF044982
	s_cbranch_scc1 label_0441                                  // 0000000050E0: BF850008
	v_mov_b32_e32 v194, 0                                      // 0000000050E4: 7F840280
	v_mov_b32_e32 v195, 0                                      // 0000000050E8: 7F860280
	v_mov_b32_e32 v196, 0                                      // 0000000050EC: 7F880280
	v_mov_b32_e32 v197, 0                                      // 0000000050F0: 7F8A0280
	v_mov_b32_e32 v198, 0                                      // 0000000050F4: 7F8C0280
	v_mov_b32_e32 v199, 0                                      // 0000000050F8: 7F8E0280
	v_mov_b32_e32 v200, 0                                      // 0000000050FC: 7F900280
	v_mov_b32_e32 v201, 0                                      // 000000005100: 7F920280

0000000000005104 <label_0441>:
	ds_write_b32 v17, v194                                     // 000000005104: D81A0000 0000C211
	ds_write_b32 v17, v195 offset:1056                         // 00000000510C: D81A0420 0000C311
	ds_write_b32 v17, v196 offset:2176                         // 000000005114: D81A0880 0000C411
	ds_write_b32 v17, v197 offset:3232                         // 00000000511C: D81A0CA0 0000C511
	ds_write_b32 v17, v198 offset:4352                         // 000000005124: D81A1100 0000C611
	ds_write_b32 v17, v199 offset:5408                         // 00000000512C: D81A1520 0000C711
	ds_write_b32 v17, v200 offset:6528                         // 000000005134: D81A1980 0000C811
	ds_write_b32 v17, v201 offset:7584                         // 00000000513C: D81A1DA0 0000C911
	s_waitcnt lgkmcnt(0)                                       // 000000005144: BF8CC07F
	s_barrier                                                  // 000000005148: BF8A0000
	ds_read_b128 a[88:91], v28                                 // 00000000514C: DBFE0000 5800001C
	ds_read_b128 a[92:95], v28 offset:512                      // 000000005154: DBFE0200 5C00001C
	s_waitcnt vmcnt(8) lgkmcnt(0)                              // 00000000515C: BF8C0078
	s_barrier                                                  // 000000005160: BF8A0000
	buffer_load_dword v15, s[24:27], 0 idxen lds               // 000000005164: E0512000 8006000F
	s_mov_b32 m0, s77                                          // 00000000516C: BEFC004D
	v_add_u32_e32 v15, s69, v15                                // 000000005170: 681E1E45
	v_perm_b32 v100, v37, v36, s63                             // 000000005174: D1ED0064 00FE4925
	v_perm_b32 v101, v37, v36, s64                             // 00000000517C: D1ED0065 01024925
	v_perm_b32 v102, v39, v38, s63                             // 000000005184: D1ED0066 00FE4D27
	v_perm_b32 v103, v39, v38, s64                             // 00000000518C: D1ED0067 01024D27
	ds_write_b32 v19, v100 offset:4352                         // 000000005194: D81A1100 00006413
	ds_write_b32 v19, v101 offset:5408                         // 00000000519C: D81A1520 00006513
	ds_write_b32 v19, v102 offset:6528                         // 0000000051A4: D81A1980 00006613
	ds_write_b32 v19, v103 offset:7584                         // 0000000051AC: D81A1DA0 00006713
	ds_write_b32 v17, v36                                      // 0000000051B4: D81A0000 00002411
	ds_write_b32 v17, v37 offset:1056                          // 0000000051BC: D81A0420 00002511
	ds_write_b32 v17, v38 offset:2176                          // 0000000051C4: D81A0880 00002611
	ds_write_b32 v17, v39 offset:3232                          // 0000000051CC: D81A0CA0 00002711
	buffer_load_dword v15, s[24:27], 0 idxen lds               // 0000000051D4: E0512000 8006000F
	s_add_u32 s60, 64, s59                                     // 0000000051DC: 803C3BC0
	s_cmp_lt_u32 s60, s58                                      // 0000000051E0: BF0A3A3C
	s_cselect_b32 s69, s69, 0                                  // 0000000051E4: 85458045
	s_mov_b32 m0, s76                                          // 0000000051E8: BEFC004C
	v_add_u32_e32 v15, s69, v15                                // 0000000051EC: 681E1E45
	v_perm_b32 v104, v45, v44, s63                             // 0000000051F0: D1ED0068 00FE592D
	v_perm_b32 v105, v45, v44, s64                             // 0000000051F8: D1ED0069 0102592D
	v_perm_b32 v106, v47, v46, s63                             // 000000005200: D1ED006A 00FE5D2F
	v_perm_b32 v107, v47, v46, s64                             // 000000005208: D1ED006B 01025D2F
	ds_write_b32 v19, v104 offset:13056                        // 000000005210: D81A3300 00006813
	ds_write_b32 v19, v105 offset:14112                        // 000000005218: D81A3720 00006913
	ds_write_b32 v19, v106 offset:15232                        // 000000005220: D81A3B80 00006A13
	ds_write_b32 v19, v107 offset:16288                        // 000000005228: D81A3FA0 00006B13
	ds_write_b32 v17, v44 offset:8704                          // 000000005230: D81A2200 00002C11
	ds_write_b32 v17, v45 offset:9760                          // 000000005238: D81A2620 00002D11
	ds_write_b32 v17, v46 offset:10880                         // 000000005240: D81A2A80 00002E11
	ds_write_b32 v17, v47 offset:11936                         // 000000005248: D81A2EA0 00002F11
	s_waitcnt vmcnt(1) lgkmcnt(0)                              // 000000005250: BF8C0071
	s_barrier                                                  // 000000005254: BF8A0000
	ds_read_b128 a[96:99], v16                                 // 000000005258: DBFE0000 60000010
	ds_read_b128 a[100:103], v16 offset:512                    // 000000005260: DBFE0200 64000010
	ds_read_b128 a[104:107], v16 offset:2176                   // 000000005268: DBFE0880 68000010
	ds_read_b128 a[108:111], v16 offset:2688                   // 000000005270: DBFE0A80 6C000010
	ds_read_b128 v[108:111], v16 offset:8704                   // 000000005278: D9FE2200 6C000010
	ds_read_b128 v[112:115], v16 offset:9216                   // 000000005280: D9FE2400 70000010
	ds_read_b128 v[116:119], v16 offset:10880                  // 000000005288: D9FE2A80 74000010
	ds_read_b128 v[120:123], v16 offset:11392                  // 000000005290: D9FE2C80 78000010
	ds_read_b32 v140, v27 offset:35584                         // 000000005298: D86C8B00 8C00001B
	ds_read_b32 v144, v27 offset:35648                         // 0000000052A0: D86C8B40 9000001B
	ds_read_b32 v176, v27 offset:35840                         // 0000000052A8: D86C8C00 B000001B
	ds_read_b32 v177, v27 offset:35904                         // 0000000052B0: D86C8C40 B100001B
	v_accvgpr_write_b32 a112, 0                                // 0000000052B8: D3D94070 18000080
	v_mov_b32_e32 v178, 0                                      // 0000000052C0: 7F640280
	v_accvgpr_write_b32 a113, 0                                // 0000000052C4: D3D94071 18000080
	v_mov_b32_e32 v179, 0                                      // 0000000052CC: 7F660280
	v_accvgpr_write_b32 a114, 0                                // 0000000052D0: D3D94072 18000080
	v_mov_b32_e32 v180, 0                                      // 0000000052D8: 7F680280
	v_accvgpr_write_b32 a115, 0                                // 0000000052DC: D3D94073 18000080
	v_mov_b32_e32 v181, 0                                      // 0000000052E4: 7F6A0280
	v_accvgpr_write_b32 a116, 0                                // 0000000052E8: D3D94074 18000080
	v_mov_b32_e32 v182, 0                                      // 0000000052F0: 7F6C0280
	v_accvgpr_write_b32 a117, 0                                // 0000000052F4: D3D94075 18000080
	v_mov_b32_e32 v183, 0                                      // 0000000052FC: 7F6E0280
	v_accvgpr_write_b32 a118, 0                                // 000000005300: D3D94076 18000080
	v_mov_b32_e32 v184, 0                                      // 000000005308: 7F700280
	v_accvgpr_write_b32 a119, 0                                // 00000000530C: D3D94077 18000080
	v_mov_b32_e32 v185, 0                                      // 000000005314: 7F720280
	v_accvgpr_write_b32 a120, 0                                // 000000005318: D3D94078 18000080
	v_mov_b32_e32 v186, 0                                      // 000000005320: 7F740280
	v_accvgpr_write_b32 a121, 0                                // 000000005324: D3D94079 18000080
	v_mov_b32_e32 v187, 0                                      // 00000000532C: 7F760280
	v_accvgpr_write_b32 a122, 0                                // 000000005330: D3D9407A 18000080
	v_mov_b32_e32 v188, 0                                      // 000000005338: 7F780280
	v_accvgpr_write_b32 a123, 0                                // 00000000533C: D3D9407B 18000080
	v_mov_b32_e32 v189, 0                                      // 000000005344: 7F7A0280
	v_accvgpr_write_b32 a124, 0                                // 000000005348: D3D9407C 18000080
	v_mov_b32_e32 v190, 0                                      // 000000005350: 7F7C0280
	v_accvgpr_write_b32 a125, 0                                // 000000005354: D3D9407D 18000080
	v_mov_b32_e32 v191, 0                                      // 00000000535C: 7F7E0280
	v_accvgpr_write_b32 a126, 0                                // 000000005360: D3D9407E 18000080
	v_mov_b32_e32 v192, 0                                      // 000000005368: 7F800280
	v_accvgpr_write_b32 a127, 0                                // 00000000536C: D3D9407F 18000080
	v_mov_b32_e32 v193, 0                                      // 000000005374: 7F820280
	v_accvgpr_write_b32 a128, 0                                // 000000005378: D3D94080 18000080
	v_mov_b32_e32 v194, 0                                      // 000000005380: 7F840280
	v_accvgpr_write_b32 a129, 0                                // 000000005384: D3D94081 18000080
	v_mov_b32_e32 v195, 0                                      // 00000000538C: 7F860280
	v_accvgpr_write_b32 a130, 0                                // 000000005390: D3D94082 18000080
	v_mov_b32_e32 v196, 0                                      // 000000005398: 7F880280
	v_accvgpr_write_b32 a131, 0                                // 00000000539C: D3D94083 18000080
	v_mov_b32_e32 v197, 0                                      // 0000000053A4: 7F8A0280
	v_accvgpr_write_b32 a132, 0                                // 0000000053A8: D3D94084 18000080
	v_mov_b32_e32 v198, 0                                      // 0000000053B0: 7F8C0280
	v_accvgpr_write_b32 a133, 0                                // 0000000053B4: D3D94085 18000080
	v_mov_b32_e32 v199, 0                                      // 0000000053BC: 7F8E0280
	v_accvgpr_write_b32 a134, 0                                // 0000000053C0: D3D94086 18000080
	v_mov_b32_e32 v200, 0                                      // 0000000053C8: 7F900280
	v_accvgpr_write_b32 a135, 0                                // 0000000053CC: D3D94087 18000080
	v_mov_b32_e32 v201, 0                                      // 0000000053D4: 7F920280
	v_accvgpr_write_b32 a136, 0                                // 0000000053D8: D3D94088 18000080
	v_mov_b32_e32 v202, 0                                      // 0000000053E0: 7F940280
	v_accvgpr_write_b32 a137, 0                                // 0000000053E4: D3D94089 18000080
	v_mov_b32_e32 v203, 0                                      // 0000000053EC: 7F960280
	v_accvgpr_write_b32 a138, 0                                // 0000000053F0: D3D9408A 18000080
	v_mov_b32_e32 v204, 0                                      // 0000000053F8: 7F980280
	v_accvgpr_write_b32 a139, 0                                // 0000000053FC: D3D9408B 18000080
	v_mov_b32_e32 v205, 0                                      // 000000005404: 7F9A0280
	v_accvgpr_write_b32 a140, 0                                // 000000005408: D3D9408C 18000080
	v_mov_b32_e32 v206, 0                                      // 000000005410: 7F9C0280
	v_accvgpr_write_b32 a141, 0                                // 000000005414: D3D9408D 18000080
	v_mov_b32_e32 v207, 0                                      // 00000000541C: 7F9E0280
	v_accvgpr_write_b32 a142, 0                                // 000000005420: D3D9408E 18000080
	v_mov_b32_e32 v208, 0                                      // 000000005428: 7FA00280
	v_accvgpr_write_b32 a143, 0                                // 00000000542C: D3D9408F 18000080
	v_mov_b32_e32 v209, 0                                      // 000000005434: 7FA20280
	v_accvgpr_write_b32 a144, 0                                // 000000005438: D3D94090 18000080
	v_mov_b32_e32 v210, 0                                      // 000000005440: 7FA40280
	v_accvgpr_write_b32 a145, 0                                // 000000005444: D3D94091 18000080
	v_mov_b32_e32 v211, 0                                      // 00000000544C: 7FA60280
	v_accvgpr_write_b32 a146, 0                                // 000000005450: D3D94092 18000080
	v_mov_b32_e32 v212, 0                                      // 000000005458: 7FA80280
	v_accvgpr_write_b32 a147, 0                                // 00000000545C: D3D94093 18000080
	v_mov_b32_e32 v213, 0                                      // 000000005464: 7FAA0280
	v_accvgpr_write_b32 a148, 0                                // 000000005468: D3D94094 18000080
	v_mov_b32_e32 v214, 0                                      // 000000005470: 7FAC0280
	v_accvgpr_write_b32 a149, 0                                // 000000005474: D3D94095 18000080
	v_mov_b32_e32 v215, 0                                      // 00000000547C: 7FAE0280
	v_accvgpr_write_b32 a150, 0                                // 000000005480: D3D94096 18000080
	v_mov_b32_e32 v216, 0                                      // 000000005488: 7FB00280
	v_accvgpr_write_b32 a151, 0                                // 00000000548C: D3D94097 18000080
	v_mov_b32_e32 v217, 0                                      // 000000005494: 7FB20280
	v_accvgpr_write_b32 a152, 0                                // 000000005498: D3D94098 18000080
	v_mov_b32_e32 v218, 0                                      // 0000000054A0: 7FB40280
	v_accvgpr_write_b32 a153, 0                                // 0000000054A4: D3D94099 18000080
	v_mov_b32_e32 v219, 0                                      // 0000000054AC: 7FB60280
	v_accvgpr_write_b32 a154, 0                                // 0000000054B0: D3D9409A 18000080
	v_mov_b32_e32 v220, 0                                      // 0000000054B8: 7FB80280
	v_accvgpr_write_b32 a155, 0                                // 0000000054BC: D3D9409B 18000080
	v_mov_b32_e32 v221, 0                                      // 0000000054C4: 7FBA0280
	v_accvgpr_write_b32 a156, 0                                // 0000000054C8: D3D9409C 18000080
	v_mov_b32_e32 v222, 0                                      // 0000000054D0: 7FBC0280
	v_accvgpr_write_b32 a157, 0                                // 0000000054D4: D3D9409D 18000080
	v_mov_b32_e32 v223, 0                                      // 0000000054DC: 7FBE0280
	v_accvgpr_write_b32 a158, 0                                // 0000000054E0: D3D9409E 18000080
	v_mov_b32_e32 v224, 0                                      // 0000000054E8: 7FC00280
	v_accvgpr_write_b32 a159, 0                                // 0000000054EC: D3D9409F 18000080
	v_mov_b32_e32 v225, 0                                      // 0000000054F4: 7FC20280
	v_mov_b32_e32 v156, 0                                      // 0000000054F8: 7F380280
	v_mov_b32_e32 v157, 0                                      // 0000000054FC: 7F3A0280
	v_mov_b32_e32 v158, 0                                      // 000000005500: 7F3C0280
	v_mov_b32_e32 v159, 0                                      // 000000005504: 7F3E0280
	v_mov_b32_e32 v160, 0                                      // 000000005508: 7F400280
	v_mov_b32_e32 v161, 0                                      // 00000000550C: 7F420280
	v_mov_b32_e32 v162, 0                                      // 000000005510: 7F440280
	v_mov_b32_e32 v163, 0                                      // 000000005514: 7F460280
	v_mov_b32_e32 v148, 0                                      // 000000005518: 7F280280
	v_mov_b32_e32 v149, 0                                      // 00000000551C: 7F2A0280
	v_mov_b32_e32 v150, 0                                      // 000000005520: 7F2C0280
	v_mov_b32_e32 v151, 0                                      // 000000005524: 7F2E0280
	v_mov_b32_e32 v152, 0                                      // 000000005528: 7F300280
	v_mov_b32_e32 v153, 0                                      // 00000000552C: 7F320280
	v_mov_b32_e32 v154, 0                                      // 000000005530: 7F340280
	v_mov_b32_e32 v155, 0                                      // 000000005534: 7F360280
	s_waitcnt lgkmcnt(0)                                       // 000000005538: BF8CC07F
	s_barrier                                                  // 00000000553C: BF8A0000
	buffer_load_dword v36, v1, s[8:11], 0 idxen                // 000000005540: E0502000 80022401
	buffer_load_dword v37, v2, s[8:11], 0 idxen                // 000000005548: E0502000 80022502
	;; [unrolled: 1-line block ×4, first 2 shown]
	buffer_load_dword v44, v1, s[20:23], 0 idxen               // 000000005560: E0502000 80052C01
	buffer_load_dword v45, v2, s[20:23], 0 idxen               // 000000005568: E0502000 80052D02
	buffer_load_dword v46, v3, s[20:23], 0 idxen               // 000000005570: E0502000 80052E03
	buffer_load_dword v47, v4, s[20:23], 0 idxen               // 000000005578: E0502000 80052F04
	buffer_load_dword v15, s[24:27], 0 idxen lds               // 000000005580: E0512000 8006000F
	s_add_u32 s60, 0x60, s59                                   // 000000005588: 803C3BFF 00000060
	s_cmp_lt_u32 s60, s58                                      // 000000005590: BF0A3A3C
	s_cselect_b32 s68, s68, 0                                  // 000000005594: 85448044
	s_cselect_b32 s69, s69, 0                                  // 000000005598: 85458045
	s_mov_b32 m0, s77                                          // 00000000559C: BEFC004D
	v_add_u32_e32 v15, s69, v15                                // 0000000055A0: 681E1E45
	s_add_u32 s8, s68, s8                                      // 0000000055A4: 80080844
	s_addc_u32 s9, 0, s9                                       // 0000000055A8: 82090980
	s_add_u32 s20, s68, s20                                    // 0000000055AC: 80141444
	s_addc_u32 s21, 0, s21                                     // 0000000055B0: 82151580
	v_mul_f32_e32 v140, s49, v140                              // 0000000055B4: 0B191831
	v_mul_f32_e32 v144, s49, v144                              // 0000000055B8: 0B212031
	v_perm_b32 v100, v41, v40, s63                             // 0000000055BC: D1ED0064 00FE5129
	v_perm_b32 v101, v41, v40, s64                             // 0000000055C4: D1ED0065 01025129
	v_perm_b32 v102, v43, v42, s63                             // 0000000055CC: D1ED0066 00FE552B
	v_perm_b32 v103, v43, v42, s64                             // 0000000055D4: D1ED0067 0102552B
	v_perm_b32 v104, v49, v48, s63                             // 0000000055DC: D1ED0068 00FE6131
	v_perm_b32 v105, v49, v48, s64                             // 0000000055E4: D1ED0069 01026131
	v_perm_b32 v106, v51, v50, s63                             // 0000000055EC: D1ED006A 00FE6533
	v_perm_b32 v107, v51, v50, s64                             // 0000000055F4: D1ED006B 01026533
	v_mov_b32_dpp v143, v140 quad_perm:[3,3,3,3] row_mask:0xf bank_mask:0xf// 0000000055FC: 7F1E02FA FF00FF8C
	v_mov_b32_dpp v142, v140 quad_perm:[2,2,2,2] row_mask:0xf bank_mask:0xf// 000000005604: 7F1C02FA FF00AA8C
	v_mov_b32_dpp v141, v140 quad_perm:[1,1,1,1] row_mask:0xf bank_mask:0xf// 00000000560C: 7F1A02FA FF00558C
	v_mov_b32_dpp v140, v140 quad_perm:[0,0,0,0] row_mask:0xf bank_mask:0xf// 000000005614: 7F1802FA FF00008C
	v_mov_b32_dpp v147, v144 quad_perm:[3,3,3,3] row_mask:0xf bank_mask:0xf// 00000000561C: 7F2602FA FF00FF90
	v_mov_b32_dpp v146, v144 quad_perm:[2,2,2,2] row_mask:0xf bank_mask:0xf// 000000005624: 7F2402FA FF00AA90
	v_mov_b32_dpp v145, v144 quad_perm:[1,1,1,1] row_mask:0xf bank_mask:0xf// 00000000562C: 7F2202FA FF005590
	v_mov_b32_dpp v144, v144 quad_perm:[0,0,0,0] row_mask:0xf bank_mask:0xf// 000000005634: 7F2002FA FF000090
	s_waitcnt vmcnt(9)                                         // 00000000563C: BF8C0F79
	s_barrier                                                  // 000000005640: BF8A0000
	s_cmp_lt_i32 s47, 2                                        // 000000005644: BF04822F
	s_cbranch_scc0 label_0DF8                                  // 000000005648: BF840865
	s_nop 0                                                    // 00000000564C: BF800000
	s_nop 0                                                    // 000000005650: BF800000
	s_nop 0                                                    // 000000005654: BF800000

0000000000005658 <label_0596>:
	s_waitcnt lgkmcnt(4)                                       // 000000005658: BF8CC47F
	s_barrier                                                  // 00000000565C: BF8A0000
	v_mfma_f32_16x16x16_bf16 v[52:55], a[96:97], a[0:1], 0     // 000000005660: D3E10034 1A020160
	ds_write_b32 v17, v48 offset:8704                          // 000000005668: D81A2200 00003011
	ds_write_b32 v17, v49 offset:9760                          // 000000005670: D81A2620 00003111
	v_mfma_f32_16x16x16_bf16 v[52:55], a[98:99], a[2:3], v[52:55]// 000000005678: D3E10034 1CD20562
	v_mul_f32_e32 v148, s48, v148                              // 000000005680: 0B292830
	v_mul_f32_e32 v149, s48, v149                              // 000000005684: 0B2B2A30
	v_mfma_f32_16x16x16_bf16 v[52:55], a[100:101], a[4:5], v[52:55]// 000000005688: D3E10034 1CD20964
	ds_write_b32 v17, v50 offset:10880                         // 000000005690: D81A2A80 00003211
	ds_write_b32 v17, v51 offset:11936                         // 000000005698: D81A2EA0 00003311
	v_mfma_f32_16x16x16_bf16 v[52:55], a[102:103], a[6:7], v[52:55]// 0000000056A0: D3E10034 1CD20D66
	v_mul_f32_e32 v150, s48, v150                              // 0000000056A8: 0B2D2C30
	v_mul_f32_e32 v151, s48, v151                              // 0000000056AC: 0B2F2E30
	v_mfma_f32_16x16x16_bf16 v[56:59], a[96:97], a[8:9], 0     // 0000000056B0: D3E10038 1A021160
	v_mul_f32_e32 v152, s48, v152                              // 0000000056B8: 0B313030
	v_mul_f32_e32 v153, s48, v153                              // 0000000056BC: 0B333230
	v_mfma_f32_16x16x16_bf16 v[56:59], a[98:99], a[10:11], v[56:59]// 0000000056C0: D3E10038 1CE21562
	v_mul_f32_e32 v154, s48, v154                              // 0000000056C8: 0B353430
	v_mul_f32_e32 v155, s48, v155                              // 0000000056CC: 0B373630
	v_mfma_f32_16x16x16_bf16 v[56:59], a[100:101], a[12:13], v[56:59]// 0000000056D0: D3E10038 1CE21964
	v_cmp_u_f32_e64 s[74:75], v148, v148                       // 0000000056D8: D048004A 00032994
	v_add3_u32 v226, v148, v229, 1                             // 0000000056E0: D1FF00E2 0207CB94
	v_cndmask_b32_e64 v32, v226, v228, s[74:75]                // 0000000056E8: D1000020 012BC9E2
	v_cmp_u_f32_e64 s[74:75], v149, v149                       // 0000000056F0: D048004A 00032B95
	v_add3_u32 v226, v149, v229, 1                             // 0000000056F8: D1FF00E2 0207CB95
	v_cndmask_b32_e64 v33, v226, v228, s[74:75]                // 000000005700: D1000021 012BC9E2
	v_perm_b32 v148, v33, v32, s64                             // 000000005708: D1ED0094 01024121
	v_cmp_u_f32_e64 s[74:75], v150, v150                       // 000000005710: D048004A 00032D96
	v_add3_u32 v226, v150, v229, 1                             // 000000005718: D1FF00E2 0207CB96
	v_cndmask_b32_e64 v32, v226, v228, s[74:75]                // 000000005720: D1000020 012BC9E2
	v_cmp_u_f32_e64 s[74:75], v151, v151                       // 000000005728: D048004A 00032F97
	v_add3_u32 v226, v151, v229, 1                             // 000000005730: D1FF00E2 0207CB97
	v_cndmask_b32_e64 v33, v226, v228, s[74:75]                // 000000005738: D1000021 012BC9E2
	v_perm_b32 v149, v33, v32, s64                             // 000000005740: D1ED0095 01024121
	v_mfma_f32_16x16x16_bf16 v[56:59], a[102:103], a[14:15], v[56:59]// 000000005748: D3E10038 1CE21D66
	v_cmp_u_f32_e64 s[74:75], v152, v152                       // 000000005750: D048004A 00033198
	v_add3_u32 v226, v152, v229, 1                             // 000000005758: D1FF00E2 0207CB98
	v_cndmask_b32_e64 v32, v226, v228, s[74:75]                // 000000005760: D1000020 012BC9E2
	v_cmp_u_f32_e64 s[74:75], v153, v153                       // 000000005768: D048004A 00033399
	v_add3_u32 v226, v153, v229, 1                             // 000000005770: D1FF00E2 0207CB99
	v_cndmask_b32_e64 v33, v226, v228, s[74:75]                // 000000005778: D1000021 012BC9E2
	v_perm_b32 v150, v33, v32, s64                             // 000000005780: D1ED0096 01024121
	v_cmp_u_f32_e64 s[74:75], v154, v154                       // 000000005788: D048004A 0003359A
	v_add3_u32 v226, v154, v229, 1                             // 000000005790: D1FF00E2 0207CB9A
	v_cndmask_b32_e64 v32, v226, v228, s[74:75]                // 000000005798: D1000020 012BC9E2
	v_cmp_u_f32_e64 s[74:75], v155, v155                       // 0000000057A0: D048004A 0003379B
	v_add3_u32 v226, v155, v229, 1                             // 0000000057A8: D1FF00E2 0207CB9B
	v_cndmask_b32_e64 v33, v226, v228, s[74:75]                // 0000000057B0: D1000021 012BC9E2
	v_perm_b32 v151, v33, v32, s64                             // 0000000057B8: D1ED0097 01024121
	v_mfma_f32_16x16x16_bf16 v[60:63], a[96:97], a[16:17], 0   // 0000000057C0: D3E1003C 1A022160
	ds_write_b64 v26, v[148:149] offset:31232                  // 0000000057C8: D89A7A00 0000941A
	v_mfma_f32_16x16x16_bf16 v[60:63], a[98:99], a[18:19], v[60:63]// 0000000057D0: D3E1003C 1CF22562
	v_mfma_f32_16x16x16_bf16 v[60:63], a[100:101], a[20:21], v[60:63]// 0000000057D8: D3E1003C 1CF22964
	ds_write_b64 v26, v[150:151] offset:31776                  // 0000000057E0: D89A7C20 0000961A
	v_mfma_f32_16x16x16_bf16 v[60:63], a[102:103], a[22:23], v[60:63]// 0000000057E8: D3E1003C 1CF22D66
	v_mfma_f32_16x16x16_bf16 v[64:67], a[104:105], a[0:1], 0   // 0000000057F0: D3E10040 1A020168
	ds_read_b128 v[124:127], v18 offset:13056                  // 0000000057F8: D9FE3300 7C000012
	ds_write_b32 v17, v40                                      // 000000005800: D81A0000 00002811
	v_mfma_f32_16x16x16_bf16 v[64:67], a[106:107], a[2:3], v[64:67]// 000000005808: D3E10040 1D02056A
	v_mfma_f32_16x16x16_bf16 v[64:67], a[108:109], a[4:5], v[64:67]// 000000005810: D3E10040 1D02096C
	v_mfma_f32_16x16x16_bf16 v[64:67], a[110:111], a[6:7], v[64:67]// 000000005818: D3E10040 1D020D6E
	ds_read_b128 v[128:131], v18 offset:13568                  // 000000005820: D9FE3500 80000012
	ds_write_b32 v17, v41 offset:1056                          // 000000005828: D81A0420 00002911
	v_mfma_f32_16x16x16_bf16 v[68:71], a[104:105], a[8:9], 0   // 000000005830: D3E10044 1A021168
	v_mfma_f32_16x16x16_bf16 v[68:71], a[106:107], a[10:11], v[68:71]// 000000005838: D3E10044 1D12156A
	v_mfma_f32_16x16x16_bf16 v[68:71], a[108:109], a[12:13], v[68:71]// 000000005840: D3E10044 1D12196C
	ds_read_b128 v[132:135], v18 offset:15232                  // 000000005848: D9FE3B80 84000012
	ds_write_b32 v17, v42 offset:2176                          // 000000005850: D81A0880 00002A11
	v_mfma_f32_16x16x16_bf16 v[68:71], a[110:111], a[14:15], v[68:71]// 000000005858: D3E10044 1D121D6E
	v_mfma_f32_16x16x16_bf16 v[72:75], a[104:105], a[16:17], 0 // 000000005860: D3E10048 1A022168
	v_mfma_f32_16x16x16_bf16 v[72:75], a[106:107], a[18:19], v[72:75]// 000000005868: D3E10048 1D22256A
	ds_read_b128 v[136:139], v18 offset:15744                  // 000000005870: D9FE3D80 88000012
	ds_write_b32 v17, v43 offset:3232                          // 000000005878: D81A0CA0 00002B11
	v_mfma_f32_16x16x16_bf16 v[72:75], a[108:109], a[20:21], v[72:75]// 000000005880: D3E10048 1D22296C
	v_mfma_f32_16x16x16_bf16 v[72:75], a[110:111], a[22:23], v[72:75]// 000000005888: D3E10048 1D222D6E
	s_cmp_lt_i32 s73, 3                                        // 000000005890: BF048349
	s_cbranch_scc0 label_063D                                  // 000000005894: BF840017
	s_cmp_eq_i32 s73, 1                                        // 000000005898: BF008149
	s_cbranch_scc1 label_062B                                  // 00000000589C: BF850003
	s_cmp_eq_i32 s73, 2                                        // 0000000058A0: BF008249
	s_cbranch_scc1 label_0634                                  // 0000000058A4: BF85000A
	s_branch label_063D                                        // 0000000058A8: BF820012

00000000000058ac <label_062B>:
	v_mov_b32_e32 v56, v230                                    // 0000000058AC: 7E7003E6
	v_mov_b32_e32 v68, v230                                    // 0000000058B0: 7E8803E6
	v_mov_b32_e32 v57, v230                                    // 0000000058B4: 7E7203E6
	v_mov_b32_e32 v69, v230                                    // 0000000058B8: 7E8A03E6
	v_mov_b32_e32 v58, v230                                    // 0000000058BC: 7E7403E6
	v_mov_b32_e32 v70, v230                                    // 0000000058C0: 7E8C03E6
	v_mov_b32_e32 v59, v230                                    // 0000000058C4: 7E7603E6
	v_mov_b32_e32 v71, v230                                    // 0000000058C8: 7E8E03E6
	s_branch label_0634                                        // 0000000058CC: BF820000

00000000000058d0 <label_0634>:
	v_mov_b32_e32 v60, v230                                    // 0000000058D0: 7E7803E6
	v_mov_b32_e32 v72, v230                                    // 0000000058D4: 7E9003E6
	v_mov_b32_e32 v61, v230                                    // 0000000058D8: 7E7A03E6
	v_mov_b32_e32 v73, v230                                    // 0000000058DC: 7E9203E6
	v_mov_b32_e32 v62, v230                                    // 0000000058E0: 7E7C03E6
	v_mov_b32_e32 v74, v230                                    // 0000000058E4: 7E9403E6
	v_mov_b32_e32 v63, v230                                    // 0000000058E8: 7E7E03E6
	v_mov_b32_e32 v75, v230                                    // 0000000058EC: 7E9603E6
	s_branch label_063D                                        // 0000000058F0: BF820000

00000000000058f4 <label_063D>:
	s_waitcnt lgkmcnt(8)                                       // 0000000058F4: BF8CC87F
	s_barrier                                                  // 0000000058F8: BF8A0000
	v_mfma_f32_16x16x16_bf16 v[76:79], v[108:109], a[72:73], 0 // 0000000058FC: D3E1004C 1202916C
	ds_read_b128 a[96:99], v18 offset:4352                     // 000000005904: DBFE1100 60000012
	ds_read_b128 a[100:103], v18 offset:4864                   // 00000000590C: DBFE1300 64000012
	v_mfma_f32_16x16x16_bf16 v[76:79], v[110:111], a[74:75], v[76:79]// 000000005914: D3E1004C 1532956E
	v_fma_f32 v52, v52, s57, -v140                             // 00000000591C: D1CB0034 86307334
	v_fma_f32 v53, v53, s57, -v141                             // 000000005924: D1CB0035 86347335
	v_fma_f32 v54, v54, s57, -v142                             // 00000000592C: D1CB0036 86387336
	v_fma_f32 v55, v55, s57, -v143                             // 000000005934: D1CB0037 863C7337
	v_fma_f32 v56, v56, s57, -v140                             // 00000000593C: D1CB0038 86307338
	v_fma_f32 v57, v57, s57, -v141                             // 000000005944: D1CB0039 86347339
	v_mfma_f32_16x16x16_bf16 v[76:79], v[112:113], a[76:77], v[76:79]// 00000000594C: D3E1004C 15329970
	v_fma_f32 v58, v58, s57, -v142                             // 000000005954: D1CB003A 8638733A
	v_fma_f32 v59, v59, s57, -v143                             // 00000000595C: D1CB003B 863C733B
	v_fma_f32 v60, v60, s57, -v140                             // 000000005964: D1CB003C 8630733C
	v_fma_f32 v61, v61, s57, -v141                             // 00000000596C: D1CB003D 8634733D
	v_fma_f32 v62, v62, s57, -v142                             // 000000005974: D1CB003E 8638733E
	v_fma_f32 v63, v63, s57, -v143                             // 00000000597C: D1CB003F 863C733F
	v_mfma_f32_16x16x16_bf16 v[76:79], v[114:115], a[78:79], v[76:79]// 000000005984: D3E1004C 15329D72
	v_fma_f32 v64, v64, s57, -v144                             // 00000000598C: D1CB0040 86407340
	v_fma_f32 v65, v65, s57, -v145                             // 000000005994: D1CB0041 86447341
	v_fma_f32 v66, v66, s57, -v146                             // 00000000599C: D1CB0042 86487342
	v_fma_f32 v67, v67, s57, -v147                             // 0000000059A4: D1CB0043 864C7343
	v_fma_f32 v68, v68, s57, -v144                             // 0000000059AC: D1CB0044 86407344
	v_fma_f32 v69, v69, s57, -v145                             // 0000000059B4: D1CB0045 86447345
	v_mfma_f32_16x16x16_bf16 v[80:83], v[108:109], a[80:81], 0 // 0000000059BC: D3E10050 1202A16C
	ds_read_b128 a[104:107], v18 offset:6528                   // 0000000059C4: DBFE1980 68000012
	ds_read_b128 a[108:111], v18 offset:7040                   // 0000000059CC: DBFE1B80 6C000012
	v_mfma_f32_16x16x16_bf16 v[80:83], v[110:111], a[82:83], v[80:83]// 0000000059D4: D3E10050 1542A56E
	v_fma_f32 v70, v70, s57, -v146                             // 0000000059DC: D1CB0046 86487346
	v_fma_f32 v71, v71, s57, -v147                             // 0000000059E4: D1CB0047 864C7347
	v_fma_f32 v72, v72, s57, -v144                             // 0000000059EC: D1CB0048 86407348
	v_fma_f32 v73, v73, s57, -v145                             // 0000000059F4: D1CB0049 86447349
	v_fma_f32 v74, v74, s57, -v146                             // 0000000059FC: D1CB004A 8648734A
	v_fma_f32 v75, v75, s57, -v147                             // 000000005A04: D1CB004B 864C734B
	v_mfma_f32_16x16x16_bf16 v[80:83], v[112:113], a[84:85], v[80:83]// 000000005A0C: D3E10050 1542A970
	v_exp_f32_e32 v52, v52                                     // 000000005A14: 7E684134
	v_exp_f32_e32 v53, v53                                     // 000000005A18: 7E6A4135
	v_mfma_f32_16x16x16_bf16 v[80:83], v[114:115], a[86:87], v[80:83]// 000000005A1C: D3E10050 1542AD72
	v_exp_f32_e32 v54, v54                                     // 000000005A24: 7E6C4136
	v_exp_f32_e32 v55, v55                                     // 000000005A28: 7E6E4137
	v_mfma_f32_16x16x16_bf16 v[84:87], v[108:109], a[88:89], 0 // 000000005A2C: D3E10054 1202B16C
	ds_read_b32 v156, v25 offset:31232                         // 000000005A34: D86C7A00 9C000019
	ds_read_b32 v157, v25 offset:31248                         // 000000005A3C: D86C7A10 9D000019
	v_mfma_f32_16x16x16_bf16 v[84:87], v[110:111], a[90:91], v[84:87]// 000000005A44: D3E10054 1552B56E
	v_exp_f32_e32 v56, v56                                     // 000000005A4C: 7E704138
	v_exp_f32_e32 v57, v57                                     // 000000005A50: 7E724139
	v_mfma_f32_16x16x16_bf16 v[84:87], v[112:113], a[92:93], v[84:87]// 000000005A54: D3E10054 1552B970
	ds_read_b32 v158, v25 offset:31264                         // 000000005A5C: D86C7A20 9E000019
	ds_read_b32 v159, v25 offset:31280                         // 000000005A64: D86C7A30 9F000019
	v_mfma_f32_16x16x16_bf16 v[84:87], v[114:115], a[94:95], v[84:87]// 000000005A6C: D3E10054 1552BD72
	v_exp_f32_e32 v58, v58                                     // 000000005A74: 7E74413A
	v_exp_f32_e32 v59, v59                                     // 000000005A78: 7E76413B
	v_mfma_f32_16x16x16_bf16 v[88:91], v[116:117], a[72:73], 0 // 000000005A7C: D3E10058 12029174
	v_exp_f32_e32 v60, v60                                     // 000000005A84: 7E78413C
	v_exp_f32_e32 v61, v61                                     // 000000005A88: 7E7A413D
	v_mfma_f32_16x16x16_bf16 v[88:91], v[118:119], a[74:75], v[88:91]// 000000005A8C: D3E10058 15629576
	v_exp_f32_e32 v62, v62                                     // 000000005A94: 7E7C413E
	v_exp_f32_e32 v63, v63                                     // 000000005A98: 7E7E413F
	v_mfma_f32_16x16x16_bf16 v[88:91], v[120:121], a[76:77], v[88:91]// 000000005A9C: D3E10058 15629978
	v_exp_f32_e32 v64, v64                                     // 000000005AA4: 7E804140
	v_exp_f32_e32 v65, v65                                     // 000000005AA8: 7E824141
	v_mfma_f32_16x16x16_bf16 v[88:91], v[122:123], a[78:79], v[88:91]// 000000005AAC: D3E10058 15629D7A
	v_exp_f32_e32 v66, v66                                     // 000000005AB4: 7E844142
	v_exp_f32_e32 v67, v67                                     // 000000005AB8: 7E864143
	v_mfma_f32_16x16x16_bf16 v[92:95], v[116:117], a[80:81], 0 // 000000005ABC: D3E1005C 1202A174
	v_exp_f32_e32 v68, v68                                     // 000000005AC4: 7E884144
	v_exp_f32_e32 v69, v69                                     // 000000005AC8: 7E8A4145
	v_mfma_f32_16x16x16_bf16 v[92:95], v[118:119], a[82:83], v[92:95]// 000000005ACC: D3E1005C 1572A576
	v_exp_f32_e32 v70, v70                                     // 000000005AD4: 7E8C4146
	v_exp_f32_e32 v71, v71                                     // 000000005AD8: 7E8E4147
	v_mfma_f32_16x16x16_bf16 v[92:95], v[120:121], a[84:85], v[92:95]// 000000005ADC: D3E1005C 1572A978
	v_exp_f32_e32 v72, v72                                     // 000000005AE4: 7E904148
	v_exp_f32_e32 v73, v73                                     // 000000005AE8: 7E924149
	v_mfma_f32_16x16x16_bf16 v[92:95], v[122:123], a[86:87], v[92:95]// 000000005AEC: D3E1005C 1572AD7A
	v_exp_f32_e32 v74, v74                                     // 000000005AF4: 7E94414A
	v_exp_f32_e32 v75, v75                                     // 000000005AF8: 7E96414B
	v_mfma_f32_16x16x16_bf16 v[96:99], v[116:117], a[88:89], 0 // 000000005AFC: D3E10060 1202B174
	v_cmp_u_f32_e64 s[74:75], v52, v52                         // 000000005B04: D048004A 00026934
	v_add3_u32 v226, v52, v229, 1                              // 000000005B0C: D1FF00E2 0207CB34
	v_cndmask_b32_e64 v32, v226, v228, s[74:75]                // 000000005B14: D1000020 012BC9E2
	v_cmp_u_f32_e64 s[74:75], v53, v53                         // 000000005B1C: D048004A 00026B35
	v_add3_u32 v226, v53, v229, 1                              // 000000005B24: D1FF00E2 0207CB35
	v_cndmask_b32_e64 v33, v226, v228, s[74:75]                // 000000005B2C: D1000021 012BC9E2
	v_perm_b32 v164, v33, v32, s64                             // 000000005B34: D1ED00A4 01024121
	v_cmp_u_f32_e64 s[74:75], v54, v54                         // 000000005B3C: D048004A 00026D36
	v_add3_u32 v226, v54, v229, 1                              // 000000005B44: D1FF00E2 0207CB36
	v_cndmask_b32_e64 v32, v226, v228, s[74:75]                // 000000005B4C: D1000020 012BC9E2
	v_cmp_u_f32_e64 s[74:75], v55, v55                         // 000000005B54: D048004A 00026F37
	v_add3_u32 v226, v55, v229, 1                              // 000000005B5C: D1FF00E2 0207CB37
	v_cndmask_b32_e64 v33, v226, v228, s[74:75]                // 000000005B64: D1000021 012BC9E2
	v_perm_b32 v165, v33, v32, s64                             // 000000005B6C: D1ED00A5 01024121
	v_cmp_u_f32_e64 s[74:75], v56, v56                         // 000000005B74: D048004A 00027138
	v_add3_u32 v226, v56, v229, 1                              // 000000005B7C: D1FF00E2 0207CB38
	v_cndmask_b32_e64 v32, v226, v228, s[74:75]                // 000000005B84: D1000020 012BC9E2
	v_cmp_u_f32_e64 s[74:75], v57, v57                         // 000000005B8C: D048004A 00027339
	v_add3_u32 v226, v57, v229, 1                              // 000000005B94: D1FF00E2 0207CB39
	v_cndmask_b32_e64 v33, v226, v228, s[74:75]                // 000000005B9C: D1000021 012BC9E2
	v_perm_b32 v166, v33, v32, s64                             // 000000005BA4: D1ED00A6 01024121
	v_cmp_u_f32_e64 s[74:75], v58, v58                         // 000000005BAC: D048004A 0002753A
	v_add3_u32 v226, v58, v229, 1                              // 000000005BB4: D1FF00E2 0207CB3A
	v_cndmask_b32_e64 v32, v226, v228, s[74:75]                // 000000005BBC: D1000020 012BC9E2
	v_cmp_u_f32_e64 s[74:75], v59, v59                         // 000000005BC4: D048004A 0002773B
	v_add3_u32 v226, v59, v229, 1                              // 000000005BCC: D1FF00E2 0207CB3B
	v_cndmask_b32_e64 v33, v226, v228, s[74:75]                // 000000005BD4: D1000021 012BC9E2
	v_perm_b32 v167, v33, v32, s64                             // 000000005BDC: D1ED00A7 01024121
	v_cmp_u_f32_e64 s[74:75], v60, v60                         // 000000005BE4: D048004A 0002793C
	v_add3_u32 v226, v60, v229, 1                              // 000000005BEC: D1FF00E2 0207CB3C
	v_cndmask_b32_e64 v32, v226, v228, s[74:75]                // 000000005BF4: D1000020 012BC9E2
	v_cmp_u_f32_e64 s[74:75], v61, v61                         // 000000005BFC: D048004A 00027B3D
	v_add3_u32 v226, v61, v229, 1                              // 000000005C04: D1FF00E2 0207CB3D
	v_cndmask_b32_e64 v33, v226, v228, s[74:75]                // 000000005C0C: D1000021 012BC9E2
	v_perm_b32 v168, v33, v32, s64                             // 000000005C14: D1ED00A8 01024121
	v_cmp_u_f32_e64 s[74:75], v62, v62                         // 000000005C1C: D048004A 00027D3E
	v_add3_u32 v226, v62, v229, 1                              // 000000005C24: D1FF00E2 0207CB3E
	v_cndmask_b32_e64 v32, v226, v228, s[74:75]                // 000000005C2C: D1000020 012BC9E2
	v_cmp_u_f32_e64 s[74:75], v63, v63                         // 000000005C34: D048004A 00027F3F
	v_add3_u32 v226, v63, v229, 1                              // 000000005C3C: D1FF00E2 0207CB3F
	v_cndmask_b32_e64 v33, v226, v228, s[74:75]                // 000000005C44: D1000021 012BC9E2
	v_perm_b32 v169, v33, v32, s64                             // 000000005C4C: D1ED00A9 01024121
	v_mfma_f32_16x16x16_bf16 v[96:99], v[118:119], a[90:91], v[96:99]// 000000005C54: D3E10060 1582B576
	v_cmp_u_f32_e64 s[74:75], v64, v64                         // 000000005C5C: D048004A 00028140
	v_add3_u32 v226, v64, v229, 1                              // 000000005C64: D1FF00E2 0207CB40
	v_cndmask_b32_e64 v32, v226, v228, s[74:75]                // 000000005C6C: D1000020 012BC9E2
	v_cmp_u_f32_e64 s[74:75], v65, v65                         // 000000005C74: D048004A 00028341
	v_add3_u32 v226, v65, v229, 1                              // 000000005C7C: D1FF00E2 0207CB41
	v_cndmask_b32_e64 v33, v226, v228, s[74:75]                // 000000005C84: D1000021 012BC9E2
	v_perm_b32 v170, v33, v32, s64                             // 000000005C8C: D1ED00AA 01024121
	v_cmp_u_f32_e64 s[74:75], v66, v66                         // 000000005C94: D048004A 00028542
	v_add3_u32 v226, v66, v229, 1                              // 000000005C9C: D1FF00E2 0207CB42
	v_cndmask_b32_e64 v32, v226, v228, s[74:75]                // 000000005CA4: D1000020 012BC9E2
	v_cmp_u_f32_e64 s[74:75], v67, v67                         // 000000005CAC: D048004A 00028743
	v_add3_u32 v226, v67, v229, 1                              // 000000005CB4: D1FF00E2 0207CB43
	v_cndmask_b32_e64 v33, v226, v228, s[74:75]                // 000000005CBC: D1000021 012BC9E2
	v_perm_b32 v171, v33, v32, s64                             // 000000005CC4: D1ED00AB 01024121
	v_cmp_u_f32_e64 s[74:75], v68, v68                         // 000000005CCC: D048004A 00028944
	v_add3_u32 v226, v68, v229, 1                              // 000000005CD4: D1FF00E2 0207CB44
	v_cndmask_b32_e64 v32, v226, v228, s[74:75]                // 000000005CDC: D1000020 012BC9E2
	v_cmp_u_f32_e64 s[74:75], v69, v69                         // 000000005CE4: D048004A 00028B45
	v_add3_u32 v226, v69, v229, 1                              // 000000005CEC: D1FF00E2 0207CB45
	v_cndmask_b32_e64 v33, v226, v228, s[74:75]                // 000000005CF4: D1000021 012BC9E2
	v_perm_b32 v172, v33, v32, s64                             // 000000005CFC: D1ED00AC 01024121
	v_cmp_u_f32_e64 s[74:75], v70, v70                         // 000000005D04: D048004A 00028D46
	v_add3_u32 v226, v70, v229, 1                              // 000000005D0C: D1FF00E2 0207CB46
	v_cndmask_b32_e64 v32, v226, v228, s[74:75]                // 000000005D14: D1000020 012BC9E2
	v_cmp_u_f32_e64 s[74:75], v71, v71                         // 000000005D1C: D048004A 00028F47
	v_add3_u32 v226, v71, v229, 1                              // 000000005D24: D1FF00E2 0207CB47
	v_cndmask_b32_e64 v33, v226, v228, s[74:75]                // 000000005D2C: D1000021 012BC9E2
	v_perm_b32 v173, v33, v32, s64                             // 000000005D34: D1ED00AD 01024121
	v_cmp_u_f32_e64 s[74:75], v72, v72                         // 000000005D3C: D048004A 00029148
	v_add3_u32 v226, v72, v229, 1                              // 000000005D44: D1FF00E2 0207CB48
	v_cndmask_b32_e64 v32, v226, v228, s[74:75]                // 000000005D4C: D1000020 012BC9E2
	v_cmp_u_f32_e64 s[74:75], v73, v73                         // 000000005D54: D048004A 00029349
	v_add3_u32 v226, v73, v229, 1                              // 000000005D5C: D1FF00E2 0207CB49
	v_cndmask_b32_e64 v33, v226, v228, s[74:75]                // 000000005D64: D1000021 012BC9E2
	v_perm_b32 v174, v33, v32, s64                             // 000000005D6C: D1ED00AE 01024121
	v_cmp_u_f32_e64 s[74:75], v74, v74                         // 000000005D74: D048004A 0002954A
	v_add3_u32 v226, v74, v229, 1                              // 000000005D7C: D1FF00E2 0207CB4A
	v_cndmask_b32_e64 v32, v226, v228, s[74:75]                // 000000005D84: D1000020 012BC9E2
	v_cmp_u_f32_e64 s[74:75], v75, v75                         // 000000005D8C: D048004A 0002974B
	v_add3_u32 v226, v75, v229, 1                              // 000000005D94: D1FF00E2 0207CB4B
	v_cndmask_b32_e64 v33, v226, v228, s[74:75]                // 000000005D9C: D1000021 012BC9E2
	v_perm_b32 v175, v33, v32, s64                             // 000000005DA4: D1ED00AF 01024121
	v_mfma_f32_16x16x16_bf16 v[96:99], v[120:121], a[92:93], v[96:99]// 000000005DAC: D3E10060 1582B978
	s_add_u32 s32, s66, s32                                    // 000000005DB4: 80202042
	s_addc_u32 s33, 0, s33                                     // 000000005DB8: 82212180
	v_mfma_f32_16x16x16_bf16 v[96:99], v[122:123], a[94:95], v[96:99]// 000000005DBC: D3E10060 1582BD7A
	s_waitcnt lgkmcnt(0)                                       // 000000005DC4: BF8CC07F
	s_barrier                                                  // 000000005DC8: BF8A0000
	v_mfma_f32_16x16x16_bf16 v[178:181], v[124:125], v[164:165], v[178:181]// 000000005DCC: D3E100B2 06CB497C
	v_subrev_f32_dpp v76, v176, v76 quad_perm:[0,0,0,0] row_mask:0xf bank_mask:0xf// 000000005DD4: 069898FA FF0000B0
	v_subrev_f32_dpp v77, v176, v77 quad_perm:[1,1,1,1] row_mask:0xf bank_mask:0xf// 000000005DDC: 069A9AFA FF0055B0
	v_subrev_f32_dpp v78, v176, v78 quad_perm:[2,2,2,2] row_mask:0xf bank_mask:0xf// 000000005DE4: 069C9CFA FF00AAB0
	v_subrev_f32_dpp v79, v176, v79 quad_perm:[3,3,3,3] row_mask:0xf bank_mask:0xf// 000000005DEC: 069E9EFA FF00FFB0
	v_subrev_f32_dpp v80, v176, v80 quad_perm:[0,0,0,0] row_mask:0xf bank_mask:0xf// 000000005DF4: 06A0A0FA FF0000B0
	v_subrev_f32_dpp v81, v176, v81 quad_perm:[1,1,1,1] row_mask:0xf bank_mask:0xf// 000000005DFC: 06A2A2FA FF0055B0
	v_mfma_f32_16x16x16_bf16 v[182:185], v[126:127], v[164:165], v[182:185]// 000000005E04: D3E100B6 06DB497E
	v_subrev_f32_dpp v82, v176, v82 quad_perm:[2,2,2,2] row_mask:0xf bank_mask:0xf// 000000005E0C: 06A4A4FA FF00AAB0
	v_subrev_f32_dpp v83, v176, v83 quad_perm:[3,3,3,3] row_mask:0xf bank_mask:0xf// 000000005E14: 06A6A6FA FF00FFB0
	v_subrev_f32_dpp v84, v176, v84 quad_perm:[0,0,0,0] row_mask:0xf bank_mask:0xf// 000000005E1C: 06A8A8FA FF0000B0
	v_subrev_f32_dpp v85, v176, v85 quad_perm:[1,1,1,1] row_mask:0xf bank_mask:0xf// 000000005E24: 06AAAAFA FF0055B0
	v_subrev_f32_dpp v86, v176, v86 quad_perm:[2,2,2,2] row_mask:0xf bank_mask:0xf// 000000005E2C: 06ACACFA FF00AAB0
	v_subrev_f32_dpp v87, v176, v87 quad_perm:[3,3,3,3] row_mask:0xf bank_mask:0xf// 000000005E34: 06AEAEFA FF00FFB0
	v_mfma_f32_16x16x16_bf16 v[186:189], v[128:129], v[164:165], v[186:189]// 000000005E3C: D3E100BA 06EB4980
	v_mul_f32_e32 v76, v52, v76                                // 000000005E44: 0A989934
	v_mul_f32_e32 v77, v53, v77                                // 000000005E48: 0A9A9B35
	v_mul_f32_e32 v78, v54, v78                                // 000000005E4C: 0A9C9D36
	v_mul_f32_e32 v79, v55, v79                                // 000000005E50: 0A9E9F37
	v_mul_f32_e32 v80, v56, v80                                // 000000005E54: 0AA0A138
	v_mul_f32_e32 v81, v57, v81                                // 000000005E58: 0AA2A339
	v_mfma_f32_16x16x16_bf16 v[190:193], v[130:131], v[164:165], v[190:193]// 000000005E5C: D3E100BE 06FB4982
	v_mul_f32_e32 v82, v58, v82                                // 000000005E64: 0AA4A53A
	v_mul_f32_e32 v83, v59, v83                                // 000000005E68: 0AA6A73B
	v_mul_f32_e32 v84, v60, v84                                // 000000005E6C: 0AA8A93C
	v_mul_f32_e32 v85, v61, v85                                // 000000005E70: 0AAAAB3D
	v_mul_f32_e32 v86, v62, v86                                // 000000005E74: 0AACAD3E
	v_mul_f32_e32 v87, v63, v87                                // 000000005E78: 0AAEAF3F
	v_mfma_f32_16x16x16_bf16 v[194:197], v[124:125], v[166:167], v[194:197]// 000000005E7C: D3E100C2 070B4D7C
	v_cmp_u_f32_e64 s[74:75], v76, v76                         // 000000005E84: D048004A 0002994C
	v_add3_u32 v226, v76, v229, 1                              // 000000005E8C: D1FF00E2 0207CB4C
	v_cndmask_b32_e64 v32, v226, v228, s[74:75]                // 000000005E94: D1000020 012BC9E2
	v_cmp_u_f32_e64 s[74:75], v77, v77                         // 000000005E9C: D048004A 00029B4D
	v_add3_u32 v226, v77, v229, 1                              // 000000005EA4: D1FF00E2 0207CB4D
	v_cndmask_b32_e64 v33, v226, v228, s[74:75]                // 000000005EAC: D1000021 012BC9E2
	v_perm_b32 v76, v33, v32, s64                              // 000000005EB4: D1ED004C 01024121
	v_cmp_u_f32_e64 s[74:75], v78, v78                         // 000000005EBC: D048004A 00029D4E
	v_add3_u32 v226, v78, v229, 1                              // 000000005EC4: D1FF00E2 0207CB4E
	v_cndmask_b32_e64 v32, v226, v228, s[74:75]                // 000000005ECC: D1000020 012BC9E2
	v_cmp_u_f32_e64 s[74:75], v79, v79                         // 000000005ED4: D048004A 00029F4F
	v_add3_u32 v226, v79, v229, 1                              // 000000005EDC: D1FF00E2 0207CB4F
	v_cndmask_b32_e64 v33, v226, v228, s[74:75]                // 000000005EE4: D1000021 012BC9E2
	v_perm_b32 v77, v33, v32, s64                              // 000000005EEC: D1ED004D 01024121
	v_cmp_u_f32_e64 s[74:75], v80, v80                         // 000000005EF4: D048004A 0002A150
	v_add3_u32 v226, v80, v229, 1                              // 000000005EFC: D1FF00E2 0207CB50
	v_cndmask_b32_e64 v32, v226, v228, s[74:75]                // 000000005F04: D1000020 012BC9E2
	v_cmp_u_f32_e64 s[74:75], v81, v81                         // 000000005F0C: D048004A 0002A351
	v_add3_u32 v226, v81, v229, 1                              // 000000005F14: D1FF00E2 0207CB51
	v_cndmask_b32_e64 v33, v226, v228, s[74:75]                // 000000005F1C: D1000021 012BC9E2
	v_perm_b32 v78, v33, v32, s64                              // 000000005F24: D1ED004E 01024121
	v_cmp_u_f32_e64 s[74:75], v82, v82                         // 000000005F2C: D048004A 0002A552
	v_add3_u32 v226, v82, v229, 1                              // 000000005F34: D1FF00E2 0207CB52
	v_cndmask_b32_e64 v32, v226, v228, s[74:75]                // 000000005F3C: D1000020 012BC9E2
	v_cmp_u_f32_e64 s[74:75], v83, v83                         // 000000005F44: D048004A 0002A753
	v_add3_u32 v226, v83, v229, 1                              // 000000005F4C: D1FF00E2 0207CB53
	v_cndmask_b32_e64 v33, v226, v228, s[74:75]                // 000000005F54: D1000021 012BC9E2
	v_perm_b32 v79, v33, v32, s64                              // 000000005F5C: D1ED004F 01024121
	v_cmp_u_f32_e64 s[74:75], v84, v84                         // 000000005F64: D048004A 0002A954
	v_add3_u32 v226, v84, v229, 1                              // 000000005F6C: D1FF00E2 0207CB54
	v_cndmask_b32_e64 v32, v226, v228, s[74:75]                // 000000005F74: D1000020 012BC9E2
	v_cmp_u_f32_e64 s[74:75], v85, v85                         // 000000005F7C: D048004A 0002AB55
	v_add3_u32 v226, v85, v229, 1                              // 000000005F84: D1FF00E2 0207CB55
	v_cndmask_b32_e64 v33, v226, v228, s[74:75]                // 000000005F8C: D1000021 012BC9E2
	v_perm_b32 v80, v33, v32, s64                              // 000000005F94: D1ED0050 01024121
	v_cmp_u_f32_e64 s[74:75], v86, v86                         // 000000005F9C: D048004A 0002AD56
	v_add3_u32 v226, v86, v229, 1                              // 000000005FA4: D1FF00E2 0207CB56
	v_cndmask_b32_e64 v32, v226, v228, s[74:75]                // 000000005FAC: D1000020 012BC9E2
	v_cmp_u_f32_e64 s[74:75], v87, v87                         // 000000005FB4: D048004A 0002AF57
	v_add3_u32 v226, v87, v229, 1                              // 000000005FBC: D1FF00E2 0207CB57
	v_cndmask_b32_e64 v33, v226, v228, s[74:75]                // 000000005FC4: D1000021 012BC9E2
	v_perm_b32 v81, v33, v32, s64                              // 000000005FCC: D1ED0051 01024121
	v_mfma_f32_16x16x16_bf16 v[198:201], v[126:127], v[166:167], v[198:201]// 000000005FD4: D3E100C6 071B4D7E
	v_mov_b32_dpp v22, v76 quad_perm:[1,0,3,2] row_mask:0xf bank_mask:0xf// 000000005FDC: 7E2C02FA FF00B14C
	v_perm_b32 v52, v22, v76, v21                              // 000000005FE4: D1ED0034 04569916
	v_mov_b32_dpp v22, v77 quad_perm:[1,0,3,2] row_mask:0xf bank_mask:0xf// 000000005FEC: 7E2C02FA FF00B14D
	v_perm_b32 v53, v22, v77, v21                              // 000000005FF4: D1ED0035 04569B16
	v_mov_b32_dpp v22, v78 quad_perm:[1,0,3,2] row_mask:0xf bank_mask:0xf// 000000005FFC: 7E2C02FA FF00B14E
	v_perm_b32 v54, v22, v78, v21                              // 000000006004: D1ED0036 04569D16
	v_mfma_f32_16x16x16_bf16 v[202:205], v[128:129], v[166:167], v[202:205]// 00000000600C: D3E100CA 072B4D80
	v_mov_b32_dpp v22, v79 quad_perm:[1,0,3,2] row_mask:0xf bank_mask:0xf// 000000006014: 7E2C02FA FF00B14F
	v_perm_b32 v55, v22, v79, v21                              // 00000000601C: D1ED0037 04569F16
	v_mov_b32_dpp v22, v80 quad_perm:[1,0,3,2] row_mask:0xf bank_mask:0xf// 000000006024: 7E2C02FA FF00B150
	v_perm_b32 v56, v22, v80, v21                              // 00000000602C: D1ED0038 0456A116
	v_mov_b32_dpp v22, v81 quad_perm:[1,0,3,2] row_mask:0xf bank_mask:0xf// 000000006034: 7E2C02FA FF00B151
	v_perm_b32 v57, v22, v81, v21                              // 00000000603C: D1ED0039 0456A316
	v_mfma_f32_16x16x16_bf16 v[206:209], v[130:131], v[166:167], v[206:209]// 000000006044: D3E100CE 073B4D82
	ds_write_b32 v24, v52 offset:17408                         // 00000000604C: D81A4400 00003418
	ds_write_b32 v24, v53 offset:17952                         // 000000006054: D81A4620 00003518
	v_mfma_f32_16x16x16_bf16 v[210:213], v[124:125], v[168:169], v[210:213]// 00000000605C: D3E100D2 074B517C
	v_subrev_f32_dpp v88, v177, v88 quad_perm:[0,0,0,0] row_mask:0xf bank_mask:0xf// 000000006064: 06B0B0FA FF0000B1
	v_subrev_f32_dpp v89, v177, v89 quad_perm:[1,1,1,1] row_mask:0xf bank_mask:0xf// 00000000606C: 06B2B2FA FF0055B1
	v_subrev_f32_dpp v90, v177, v90 quad_perm:[2,2,2,2] row_mask:0xf bank_mask:0xf// 000000006074: 06B4B4FA FF00AAB1
	v_subrev_f32_dpp v91, v177, v91 quad_perm:[3,3,3,3] row_mask:0xf bank_mask:0xf// 00000000607C: 06B6B6FA FF00FFB1
	v_subrev_f32_dpp v92, v177, v92 quad_perm:[0,0,0,0] row_mask:0xf bank_mask:0xf// 000000006084: 06B8B8FA FF0000B1
	v_subrev_f32_dpp v93, v177, v93 quad_perm:[1,1,1,1] row_mask:0xf bank_mask:0xf// 00000000608C: 06BABAFA FF0055B1
	v_mfma_f32_16x16x16_bf16 v[214:217], v[126:127], v[168:169], v[214:217]// 000000006094: D3E100D6 075B517E
	ds_write_b32 v24, v54 offset:19712                         // 00000000609C: D81A4D00 00003618
	ds_write_b32 v24, v55 offset:20256                         // 0000000060A4: D81A4F20 00003718
	v_mfma_f32_16x16x16_bf16 v[218:221], v[128:129], v[168:169], v[218:221]// 0000000060AC: D3E100DA 076B5180
	v_subrev_f32_dpp v94, v177, v94 quad_perm:[2,2,2,2] row_mask:0xf bank_mask:0xf// 0000000060B4: 06BCBCFA FF00AAB1
	v_subrev_f32_dpp v95, v177, v95 quad_perm:[3,3,3,3] row_mask:0xf bank_mask:0xf// 0000000060BC: 06BEBEFA FF00FFB1
	v_subrev_f32_dpp v96, v177, v96 quad_perm:[0,0,0,0] row_mask:0xf bank_mask:0xf// 0000000060C4: 06C0C0FA FF0000B1
	v_subrev_f32_dpp v97, v177, v97 quad_perm:[1,1,1,1] row_mask:0xf bank_mask:0xf// 0000000060CC: 06C2C2FA FF0055B1
	v_subrev_f32_dpp v98, v177, v98 quad_perm:[2,2,2,2] row_mask:0xf bank_mask:0xf// 0000000060D4: 06C4C4FA FF00AAB1
	v_subrev_f32_dpp v99, v177, v99 quad_perm:[3,3,3,3] row_mask:0xf bank_mask:0xf// 0000000060DC: 06C6C6FA FF00FFB1
	v_mfma_f32_16x16x16_bf16 v[222:225], v[130:131], v[168:169], v[222:225]// 0000000060E4: D3E100DE 077B5182
	ds_write_b32 v24, v56 offset:22016                         // 0000000060EC: D81A5600 00003818
	ds_write_b32 v24, v57 offset:22560                         // 0000000060F4: D81A5820 00003918
	v_mfma_f32_16x16x16_bf16 v[178:181], v[132:133], v[170:171], v[178:181]// 0000000060FC: D3E100B2 06CB5584
	v_mul_f32_e32 v88, v64, v88                                // 000000006104: 0AB0B140
	v_mul_f32_e32 v89, v65, v89                                // 000000006108: 0AB2B341
	v_mul_f32_e32 v90, v66, v90                                // 00000000610C: 0AB4B542
	v_mul_f32_e32 v91, v67, v91                                // 000000006110: 0AB6B743
	v_mul_f32_e32 v92, v68, v92                                // 000000006114: 0AB8B944
	v_mul_f32_e32 v93, v69, v93                                // 000000006118: 0ABABB45
	v_mfma_f32_16x16x16_bf16 v[182:185], v[134:135], v[170:171], v[182:185]// 00000000611C: D3E100B6 06DB5586
	v_mul_f32_e32 v94, v70, v94                                // 000000006124: 0ABCBD46
	v_mul_f32_e32 v95, v71, v95                                // 000000006128: 0ABEBF47
	v_mul_f32_e32 v96, v72, v96                                // 00000000612C: 0AC0C148
	v_mul_f32_e32 v97, v73, v97                                // 000000006130: 0AC2C349
	v_mul_f32_e32 v98, v74, v98                                // 000000006134: 0AC4C54A
	v_mul_f32_e32 v99, v75, v99                                // 000000006138: 0AC6C74B
	v_mfma_f32_16x16x16_bf16 v[186:189], v[136:137], v[170:171], v[186:189]// 00000000613C: D3E100BA 06EB5588
	v_cmp_u_f32_e64 s[74:75], v88, v88                         // 000000006144: D048004A 0002B158
	v_add3_u32 v226, v88, v229, 1                              // 00000000614C: D1FF00E2 0207CB58
	v_cndmask_b32_e64 v32, v226, v228, s[74:75]                // 000000006154: D1000020 012BC9E2
	v_cmp_u_f32_e64 s[74:75], v89, v89                         // 00000000615C: D048004A 0002B359
	v_add3_u32 v226, v89, v229, 1                              // 000000006164: D1FF00E2 0207CB59
	v_cndmask_b32_e64 v33, v226, v228, s[74:75]                // 00000000616C: D1000021 012BC9E2
	v_perm_b32 v82, v33, v32, s64                              // 000000006174: D1ED0052 01024121
	v_cmp_u_f32_e64 s[74:75], v90, v90                         // 00000000617C: D048004A 0002B55A
	v_add3_u32 v226, v90, v229, 1                              // 000000006184: D1FF00E2 0207CB5A
	v_cndmask_b32_e64 v32, v226, v228, s[74:75]                // 00000000618C: D1000020 012BC9E2
	v_cmp_u_f32_e64 s[74:75], v91, v91                         // 000000006194: D048004A 0002B75B
	v_add3_u32 v226, v91, v229, 1                              // 00000000619C: D1FF00E2 0207CB5B
	v_cndmask_b32_e64 v33, v226, v228, s[74:75]                // 0000000061A4: D1000021 012BC9E2
	v_perm_b32 v83, v33, v32, s64                              // 0000000061AC: D1ED0053 01024121
	v_cmp_u_f32_e64 s[74:75], v92, v92                         // 0000000061B4: D048004A 0002B95C
	v_add3_u32 v226, v92, v229, 1                              // 0000000061BC: D1FF00E2 0207CB5C
	v_cndmask_b32_e64 v32, v226, v228, s[74:75]                // 0000000061C4: D1000020 012BC9E2
	v_cmp_u_f32_e64 s[74:75], v93, v93                         // 0000000061CC: D048004A 0002BB5D
	v_add3_u32 v226, v93, v229, 1                              // 0000000061D4: D1FF00E2 0207CB5D
	v_cndmask_b32_e64 v33, v226, v228, s[74:75]                // 0000000061DC: D1000021 012BC9E2
	v_perm_b32 v84, v33, v32, s64                              // 0000000061E4: D1ED0054 01024121
	v_cmp_u_f32_e64 s[74:75], v94, v94                         // 0000000061EC: D048004A 0002BD5E
	v_add3_u32 v226, v94, v229, 1                              // 0000000061F4: D1FF00E2 0207CB5E
	v_cndmask_b32_e64 v32, v226, v228, s[74:75]                // 0000000061FC: D1000020 012BC9E2
	v_cmp_u_f32_e64 s[74:75], v95, v95                         // 000000006204: D048004A 0002BF5F
	v_add3_u32 v226, v95, v229, 1                              // 00000000620C: D1FF00E2 0207CB5F
	v_cndmask_b32_e64 v33, v226, v228, s[74:75]                // 000000006214: D1000021 012BC9E2
	v_perm_b32 v85, v33, v32, s64                              // 00000000621C: D1ED0055 01024121
	v_cmp_u_f32_e64 s[74:75], v96, v96                         // 000000006224: D048004A 0002C160
	v_add3_u32 v226, v96, v229, 1                              // 00000000622C: D1FF00E2 0207CB60
	v_cndmask_b32_e64 v32, v226, v228, s[74:75]                // 000000006234: D1000020 012BC9E2
	v_cmp_u_f32_e64 s[74:75], v97, v97                         // 00000000623C: D048004A 0002C361
	v_add3_u32 v226, v97, v229, 1                              // 000000006244: D1FF00E2 0207CB61
	v_cndmask_b32_e64 v33, v226, v228, s[74:75]                // 00000000624C: D1000021 012BC9E2
	v_perm_b32 v86, v33, v32, s64                              // 000000006254: D1ED0056 01024121
	v_cmp_u_f32_e64 s[74:75], v98, v98                         // 00000000625C: D048004A 0002C562
	v_add3_u32 v226, v98, v229, 1                              // 000000006264: D1FF00E2 0207CB62
	v_cndmask_b32_e64 v32, v226, v228, s[74:75]                // 00000000626C: D1000020 012BC9E2
	v_cmp_u_f32_e64 s[74:75], v99, v99                         // 000000006274: D048004A 0002C763
	v_add3_u32 v226, v99, v229, 1                              // 00000000627C: D1FF00E2 0207CB63
	v_cndmask_b32_e64 v33, v226, v228, s[74:75]                // 000000006284: D1000021 012BC9E2
	v_perm_b32 v87, v33, v32, s64                              // 00000000628C: D1ED0057 01024121
	v_mfma_f32_16x16x16_bf16 v[190:193], v[138:139], v[170:171], v[190:193]// 000000006294: D3E100BE 06FB558A
	v_mov_b32_dpp v22, v82 quad_perm:[1,0,3,2] row_mask:0xf bank_mask:0xf// 00000000629C: 7E2C02FA FF00B152
	v_perm_b32 v58, v22, v82, v21                              // 0000000062A4: D1ED003A 0456A516
	v_mov_b32_dpp v22, v83 quad_perm:[1,0,3,2] row_mask:0xf bank_mask:0xf// 0000000062AC: 7E2C02FA FF00B153
	v_perm_b32 v59, v22, v83, v21                              // 0000000062B4: D1ED003B 0456A716
	v_mov_b32_dpp v22, v84 quad_perm:[1,0,3,2] row_mask:0xf bank_mask:0xf// 0000000062BC: 7E2C02FA FF00B154
	v_perm_b32 v60, v22, v84, v21                              // 0000000062C4: D1ED003C 0456A916
	v_mfma_f32_16x16x16_bf16 v[194:197], v[132:133], v[172:173], v[194:197]// 0000000062CC: D3E100C2 070B5984
	v_mov_b32_dpp v22, v85 quad_perm:[1,0,3,2] row_mask:0xf bank_mask:0xf// 0000000062D4: 7E2C02FA FF00B155
	v_perm_b32 v61, v22, v85, v21                              // 0000000062DC: D1ED003D 0456AB16
	v_mov_b32_dpp v22, v86 quad_perm:[1,0,3,2] row_mask:0xf bank_mask:0xf// 0000000062E4: 7E2C02FA FF00B156
	v_perm_b32 v62, v22, v86, v21                              // 0000000062EC: D1ED003E 0456AD16
	v_mov_b32_dpp v22, v87 quad_perm:[1,0,3,2] row_mask:0xf bank_mask:0xf// 0000000062F4: 7E2C02FA FF00B157
	v_perm_b32 v63, v22, v87, v21                              // 0000000062FC: D1ED003F 0456AF16
	v_mfma_f32_16x16x16_bf16 v[198:201], v[134:135], v[172:173], v[198:201]// 000000006304: D3E100C6 071B5986
	ds_write_b32 v24, v58 offset:24320                         // 00000000630C: D81A5F00 00003A18
	ds_write_b32 v24, v59 offset:24864                         // 000000006314: D81A6120 00003B18
	v_mfma_f32_16x16x16_bf16 v[202:205], v[136:137], v[172:173], v[202:205]// 00000000631C: D3E100CA 072B5988
	v_mfma_f32_16x16x16_bf16 v[206:209], v[138:139], v[172:173], v[206:209]// 000000006324: D3E100CE 073B598A
	ds_write_b32 v24, v60 offset:26624                         // 00000000632C: D81A6800 00003C18
	ds_write_b32 v24, v61 offset:27168                         // 000000006334: D81A6A20 00003D18
	ds_write_b32 v24, v62 offset:28928                         // 00000000633C: D81A7100 00003E18
	ds_write_b32 v24, v63 offset:29472                         // 000000006344: D81A7320 00003F18
	v_mfma_f32_16x16x16_bf16 v[210:213], v[132:133], v[174:175], v[210:213]// 00000000634C: D3E100D2 074B5D84
	v_mfma_f32_16x16x16_bf16 v[214:217], v[134:135], v[174:175], v[214:217]// 000000006354: D3E100D6 075B5D86
	ds_write_b32 v19, v100 offset:4352                         // 00000000635C: D81A1100 00006413
	ds_write_b32 v19, v101 offset:5408                         // 000000006364: D81A1520 00006513
	v_mfma_f32_16x16x16_bf16 v[218:221], v[136:137], v[174:175], v[218:221]// 00000000636C: D3E100DA 076B5D88
	s_nop 0                                                    // 000000006374: BF800000
	s_nop 0                                                    // 000000006378: BF800000
	s_nop 0                                                    // 00000000637C: BF800000
	v_mfma_f32_16x16x16_bf16 v[222:225], v[138:139], v[174:175], v[222:225]// 000000006380: D3E100DE 077B5D8A
	ds_write_b32 v19, v102 offset:6528                         // 000000006388: D81A1980 00006613
	ds_write_b32 v19, v103 offset:7584                         // 000000006390: D81A1DA0 00006713
	s_barrier                                                  // 000000006398: BF8A0000
	v_mfma_f32_16x16x16_bf16 a[112:115], a[96:97], v[76:77], a[112:115]// 00000000639C: D3E18070 0DC29960
	global_atomic_pk_add_bf16 v6, v156, s[32:33]               // 0000000063A4: DD488000 00209C06
	v_mfma_f32_16x16x16_bf16 a[116:119], a[98:99], v[76:77], a[116:119]// 0000000063AC: D3E18074 0DD29962
	ds_read_b32 v140, v27 offset:36096                         // 0000000063B4: D86C8D00 8C00001B
	ds_read_b32 v144, v27 offset:36160                         // 0000000063BC: D86C8D40 9000001B
	ds_read_b32 v176, v27 offset:36352                         // 0000000063C4: D86C8E00 B000001B
	ds_read_b32 v177, v27 offset:36416                         // 0000000063CC: D86C8E40 B100001B
	v_mfma_f32_16x16x16_bf16 a[120:123], a[100:101], v[76:77], a[120:123]// 0000000063D4: D3E18078 0DE29964
	s_waitcnt lgkmcnt(8)                                       // 0000000063DC: BF8CC87F
	s_barrier                                                  // 0000000063E0: BF8A0000
	v_mfma_f32_16x16x16_bf16 a[124:127], a[102:103], v[76:77], a[124:127]// 0000000063E4: D3E1807C 0DF29966
	ds_read_b128 v[52:55], v23 offset:17408                    // 0000000063EC: D9FE4400 34000017
	v_mfma_f32_16x16x16_bf16 a[128:131], a[96:97], v[78:79], a[128:131]// 0000000063F4: D3E18080 0E029D60
	v_mfma_f32_16x16x16_bf16 a[132:135], a[98:99], v[78:79], a[132:135]// 0000000063FC: D3E18084 0E129D62
	ds_read_b128 v[56:59], v23 offset:18560                    // 000000006404: D9FE4880 38000017
	v_mfma_f32_16x16x16_bf16 a[136:139], a[100:101], v[78:79], a[136:139]// 00000000640C: D3E18088 0E229D64
	global_atomic_pk_add_bf16 v8, v157, s[32:33]               // 000000006414: DD488000 00209D08
	v_mfma_f32_16x16x16_bf16 a[140:143], a[102:103], v[78:79], a[140:143]// 00000000641C: D3E1808C 0E329D66
	ds_read_b128 v[60:63], v23 offset:19712                    // 000000006424: D9FE4D00 3C000017
	v_mfma_f32_16x16x16_bf16 a[144:147], a[96:97], v[80:81], a[144:147]// 00000000642C: D3E18090 0E42A160
	v_mfma_f32_16x16x16_bf16 a[148:151], a[98:99], v[80:81], a[148:151]// 000000006434: D3E18094 0E52A162
	ds_read_b128 v[64:67], v23 offset:20864                    // 00000000643C: D9FE5180 40000017
	v_mfma_f32_16x16x16_bf16 a[152:155], a[100:101], v[80:81], a[152:155]// 000000006444: D3E18098 0E62A164
	v_mfma_f32_16x16x16_bf16 a[156:159], a[102:103], v[80:81], a[156:159]// 00000000644C: D3E1809C 0E72A166
	ds_read_b128 v[68:71], v23 offset:22016                    // 000000006454: D9FE5600 44000017
	v_mfma_f32_16x16x16_bf16 a[112:115], a[104:105], v[82:83], a[112:115]// 00000000645C: D3E18070 0DC2A568
	global_atomic_pk_add_bf16 v10, v158, s[32:33]              // 000000006464: DD488000 00209E0A
	v_mfma_f32_16x16x16_bf16 a[116:119], a[106:107], v[82:83], a[116:119]// 00000000646C: D3E18074 0DD2A56A
	ds_read_b128 v[72:75], v23 offset:23168                    // 000000006474: D9FE5A80 48000017
	v_mfma_f32_16x16x16_bf16 a[120:123], a[108:109], v[82:83], a[120:123]// 00000000647C: D3E18078 0DE2A56C
	v_mfma_f32_16x16x16_bf16 a[124:127], a[110:111], v[82:83], a[124:127]// 000000006484: D3E1807C 0DF2A56E
	ds_write_b32 v19, v104 offset:13056                        // 00000000648C: D81A3300 00006813
	v_mfma_f32_16x16x16_bf16 a[128:131], a[104:105], v[84:85], a[128:131]// 000000006494: D3E18080 0E02A968
	v_mfma_f32_16x16x16_bf16 a[132:135], a[106:107], v[84:85], a[132:135]// 00000000649C: D3E18084 0E12A96A
	ds_write_b32 v19, v105 offset:14112                        // 0000000064A4: D81A3720 00006913
	v_mfma_f32_16x16x16_bf16 a[136:139], a[108:109], v[84:85], a[136:139]// 0000000064AC: D3E18088 0E22A96C
	global_atomic_pk_add_bf16 v12, v159, s[32:33]              // 0000000064B4: DD488000 00209F0C
	v_mfma_f32_16x16x16_bf16 a[140:143], a[110:111], v[84:85], a[140:143]// 0000000064BC: D3E1808C 0E32A96E
	ds_write_b32 v19, v106 offset:15232                        // 0000000064C4: D81A3B80 00006A13
	v_mfma_f32_16x16x16_bf16 a[144:147], a[104:105], v[86:87], a[144:147]// 0000000064CC: D3E18090 0E42AD68
	v_mfma_f32_16x16x16_bf16 a[148:151], a[106:107], v[86:87], a[148:151]// 0000000064D4: D3E18094 0E52AD6A
	ds_write_b32 v19, v107 offset:16288                        // 0000000064DC: D81A3FA0 00006B13
	v_mfma_f32_16x16x16_bf16 a[152:155], a[108:109], v[86:87], a[152:155]// 0000000064E4: D3E18098 0E62AD6C
	v_mfma_f32_16x16x16_bf16 a[156:159], a[110:111], v[86:87], a[156:159]// 0000000064EC: D3E1809C 0E72AD6E
	s_waitcnt vmcnt(4) lgkmcnt(4)                              // 0000000064F4: BF8C0474
	s_barrier                                                  // 0000000064F8: BF8A0000
	v_mfma_f32_16x16x16_bf16 v[148:151], a[24:25], v[52:53], 0 // 0000000064FC: D3E10094 0A026918
	v_mul_f32_e32 v140, s49, v140                              // 000000006504: 0B191831
	v_mul_f32_e32 v144, s49, v144                              // 000000006508: 0B212031
	s_nop 0                                                    // 00000000650C: BF800000
	v_mfma_f32_16x16x16_bf16 v[148:151], a[28:29], v[54:55], v[148:151]// 000000006510: D3E10094 0E526D1C
	ds_read_b128 a[96:99], v16                                 // 000000006518: DBFE0000 60000010
	buffer_load_dword v40, v1, s[8:11], 0 idxen                // 000000006520: E0502000 80022801
	v_mfma_f32_16x16x16_bf16 v[148:151], a[32:33], v[56:57], v[148:151]// 000000006528: D3E10094 0E527120
	v_mfma_f32_16x16x16_bf16 v[148:151], a[36:37], v[58:59], v[148:151]// 000000006530: D3E10094 0E527524
	ds_read_b128 a[100:103], v16 offset:512                    // 000000006538: DBFE0200 64000010
	buffer_load_dword v41, v2, s[8:11], 0 idxen                // 000000006540: E0502000 80022902
	v_mfma_f32_16x16x16_bf16 v[148:151], a[40:41], v[60:61], v[148:151]// 000000006548: D3E10094 0E527928
	v_perm_b32 v100, v37, v36, s63                             // 000000006550: D1ED0064 00FE4925
	v_perm_b32 v101, v37, v36, s64                             // 000000006558: D1ED0065 01024925
	v_mfma_f32_16x16x16_bf16 v[148:151], a[44:45], v[62:63], v[148:151]// 000000006560: D3E10094 0E527D2C
	ds_read_b128 a[104:107], v16 offset:2176                   // 000000006568: DBFE0880 68000010
	buffer_load_dword v42, v3, s[8:11], 0 idxen                // 000000006570: E0502000 80022A03
	v_mfma_f32_16x16x16_bf16 v[148:151], a[48:49], v[64:65], v[148:151]// 000000006578: D3E10094 0E528130
	v_perm_b32 v102, v39, v38, s63                             // 000000006580: D1ED0066 00FE4D27
	v_perm_b32 v103, v39, v38, s64                             // 000000006588: D1ED0067 01024D27
	v_mfma_f32_16x16x16_bf16 v[148:151], a[52:53], v[66:67], v[148:151]// 000000006590: D3E10094 0E528534
	ds_read_b128 a[108:111], v16 offset:2688                   // 000000006598: DBFE0A80 6C000010
	buffer_load_dword v43, v4, s[8:11], 0 idxen                // 0000000065A0: E0502000 80022B04
	v_mfma_f32_16x16x16_bf16 v[148:151], a[56:57], v[68:69], v[148:151]// 0000000065A8: D3E10094 0E528938
	v_perm_b32 v104, v45, v44, s63                             // 0000000065B0: D1ED0068 00FE592D
	v_perm_b32 v105, v45, v44, s64                             // 0000000065B8: D1ED0069 0102592D
	v_mfma_f32_16x16x16_bf16 v[148:151], a[60:61], v[70:71], v[148:151]// 0000000065C0: D3E10094 0E528D3C
	ds_read_b128 v[108:111], v16 offset:8704                   // 0000000065C8: D9FE2200 6C000010
	buffer_load_dword v48, v1, s[20:23], 0 idxen               // 0000000065D0: E0502000 80053001
	v_mfma_f32_16x16x16_bf16 v[148:151], a[64:65], v[72:73], v[148:151]// 0000000065D8: D3E10094 0E529140
	v_perm_b32 v106, v47, v46, s63                             // 0000000065E0: D1ED006A 00FE5D2F
	v_perm_b32 v107, v47, v46, s64                             // 0000000065E8: D1ED006B 01025D2F
	v_mfma_f32_16x16x16_bf16 v[148:151], a[68:69], v[74:75], v[148:151]// 0000000065F0: D3E10094 0E529544
	ds_read_b128 v[112:115], v16 offset:9216                   // 0000000065F8: D9FE2400 70000010
	buffer_load_dword v49, v2, s[20:23], 0 idxen               // 000000006600: E0502000 80053102
	v_mfma_f32_16x16x16_bf16 v[152:155], a[26:27], v[52:53], 0 // 000000006608: D3E10098 0A02691A
	v_mov_b32_dpp v143, v140 quad_perm:[3,3,3,3] row_mask:0xf bank_mask:0xf// 000000006610: 7F1E02FA FF00FF8C
	v_mov_b32_dpp v142, v140 quad_perm:[2,2,2,2] row_mask:0xf bank_mask:0xf// 000000006618: 7F1C02FA FF00AA8C
	v_mov_b32_dpp v141, v140 quad_perm:[1,1,1,1] row_mask:0xf bank_mask:0xf// 000000006620: 7F1A02FA FF00558C
	v_mov_b32_dpp v140, v140 quad_perm:[0,0,0,0] row_mask:0xf bank_mask:0xf// 000000006628: 7F1802FA FF00008C
	v_mfma_f32_16x16x16_bf16 v[152:155], a[30:31], v[54:55], v[152:155]// 000000006630: D3E10098 0E626D1E
	ds_read_b128 v[116:119], v16 offset:10880                  // 000000006638: D9FE2A80 74000010
	buffer_load_dword v50, v3, s[20:23], 0 idxen               // 000000006640: E0502000 80053203
	v_mfma_f32_16x16x16_bf16 v[152:155], a[34:35], v[56:57], v[152:155]// 000000006648: D3E10098 0E627122
	v_mov_b32_dpp v147, v144 quad_perm:[3,3,3,3] row_mask:0xf bank_mask:0xf// 000000006650: 7F2602FA FF00FF90
	v_mov_b32_dpp v146, v144 quad_perm:[2,2,2,2] row_mask:0xf bank_mask:0xf// 000000006658: 7F2402FA FF00AA90
	v_mov_b32_dpp v145, v144 quad_perm:[1,1,1,1] row_mask:0xf bank_mask:0xf// 000000006660: 7F2202FA FF005590
	v_mov_b32_dpp v144, v144 quad_perm:[0,0,0,0] row_mask:0xf bank_mask:0xf// 000000006668: 7F2002FA FF000090
	s_add_u32 s60, 0x80, s59                                   // 000000006670: 803C3BFF 00000080
	v_mfma_f32_16x16x16_bf16 v[152:155], a[38:39], v[58:59], v[152:155]// 000000006678: D3E10098 0E627526
	ds_read_b128 v[120:123], v16 offset:11392                  // 000000006680: D9FE2C80 78000010
	buffer_load_dword v51, v4, s[20:23], 0 idxen               // 000000006688: E0502000 80053304
	v_mfma_f32_16x16x16_bf16 v[152:155], a[42:43], v[60:61], v[152:155]// 000000006690: D3E10098 0E62792A
	s_cmp_lt_u32 s60, s58                                      // 000000006698: BF0A3A3C
	s_cselect_b32 s68, s68, 0                                  // 00000000669C: 85448044
	s_cselect_b32 s69, s69, 0                                  // 0000000066A0: 85458045
	v_mfma_f32_16x16x16_bf16 v[152:155], a[46:47], v[62:63], v[152:155]// 0000000066A4: D3E10098 0E627D2E
	buffer_load_dword v15, s[24:27], 0 idxen lds               // 0000000066AC: E0512000 8006000F
	v_mfma_f32_16x16x16_bf16 v[152:155], a[50:51], v[64:65], v[152:155]// 0000000066B4: D3E10098 0E628132
	s_add_u32 s8, s68, s8                                      // 0000000066BC: 80080844
	s_addc_u32 s9, 0, s9                                       // 0000000066C0: 82090980
	v_mfma_f32_16x16x16_bf16 v[152:155], a[54:55], v[66:67], v[152:155]// 0000000066C4: D3E10098 0E628536
	s_add_u32 s20, s68, s20                                    // 0000000066CC: 80141444
	s_addc_u32 s21, 0, s21                                     // 0000000066D0: 82151580
	v_mfma_f32_16x16x16_bf16 v[152:155], a[58:59], v[68:69], v[152:155]// 0000000066D4: D3E10098 0E62893A
	s_mov_b32 m0, s76                                          // 0000000066DC: BEFC004C
	v_add_u32_e32 v15, s69, v15                                // 0000000066E0: 681E1E45
	v_mfma_f32_16x16x16_bf16 v[152:155], a[62:63], v[70:71], v[152:155]// 0000000066E4: D3E10098 0E628D3E
	s_cmp_ge_u32 s59, 32                                       // 0000000066EC: BF09A03B
	s_cselect_b32 s66, s67, s66                                // 0000000066F0: 85424243
	v_mfma_f32_16x16x16_bf16 v[152:155], a[66:67], v[72:73], v[152:155]// 0000000066F4: D3E10098 0E629142
	s_addk_i32 s59, 0x20                                       // 0000000066FC: B73B0020
	s_nop 0                                                    // 000000006700: BF800000
	s_cmp_lt_i32 s59, s58                                      // 000000006704: BF043A3B
	v_mfma_f32_16x16x16_bf16 v[152:155], a[70:71], v[74:75], v[152:155]// 000000006708: D3E10098 0E629546
	s_cbranch_scc0 label_0DF5                                  // 000000006710: BF840430
	s_waitcnt lgkmcnt(4)                                       // 000000006714: BF8CC47F
	s_barrier                                                  // 000000006718: BF8A0000
	v_mfma_f32_16x16x16_bf16 v[52:55], a[96:97], a[0:1], 0     // 00000000671C: D3E10034 1A020160
	ds_write_b32 v17, v44 offset:8704                          // 000000006724: D81A2200 00002C11
	ds_write_b32 v17, v45 offset:9760                          // 00000000672C: D81A2620 00002D11
	v_mfma_f32_16x16x16_bf16 v[52:55], a[98:99], a[2:3], v[52:55]// 000000006734: D3E10034 1CD20562
	v_mul_f32_e32 v148, s48, v148                              // 00000000673C: 0B292830
	v_mul_f32_e32 v149, s48, v149                              // 000000006740: 0B2B2A30
	v_mfma_f32_16x16x16_bf16 v[52:55], a[100:101], a[4:5], v[52:55]// 000000006744: D3E10034 1CD20964
	ds_write_b32 v17, v46 offset:10880                         // 00000000674C: D81A2A80 00002E11
	ds_write_b32 v17, v47 offset:11936                         // 000000006754: D81A2EA0 00002F11
	v_mfma_f32_16x16x16_bf16 v[52:55], a[102:103], a[6:7], v[52:55]// 00000000675C: D3E10034 1CD20D66
	v_mul_f32_e32 v150, s48, v150                              // 000000006764: 0B2D2C30
	v_mul_f32_e32 v151, s48, v151                              // 000000006768: 0B2F2E30
	v_mfma_f32_16x16x16_bf16 v[56:59], a[96:97], a[8:9], 0     // 00000000676C: D3E10038 1A021160
	v_mul_f32_e32 v152, s48, v152                              // 000000006774: 0B313030
	v_mul_f32_e32 v153, s48, v153                              // 000000006778: 0B333230
	v_mfma_f32_16x16x16_bf16 v[56:59], a[98:99], a[10:11], v[56:59]// 00000000677C: D3E10038 1CE21562
	v_mul_f32_e32 v154, s48, v154                              // 000000006784: 0B353430
	v_mul_f32_e32 v155, s48, v155                              // 000000006788: 0B373630
	v_mfma_f32_16x16x16_bf16 v[56:59], a[100:101], a[12:13], v[56:59]// 00000000678C: D3E10038 1CE21964
	v_cmp_u_f32_e64 s[74:75], v148, v148                       // 000000006794: D048004A 00032994
	v_add3_u32 v226, v148, v229, 1                             // 00000000679C: D1FF00E2 0207CB94
	v_cndmask_b32_e64 v32, v226, v228, s[74:75]                // 0000000067A4: D1000020 012BC9E2
	v_cmp_u_f32_e64 s[74:75], v149, v149                       // 0000000067AC: D048004A 00032B95
	v_add3_u32 v226, v149, v229, 1                             // 0000000067B4: D1FF00E2 0207CB95
	v_cndmask_b32_e64 v33, v226, v228, s[74:75]                // 0000000067BC: D1000021 012BC9E2
	v_perm_b32 v148, v33, v32, s64                             // 0000000067C4: D1ED0094 01024121
	v_cmp_u_f32_e64 s[74:75], v150, v150                       // 0000000067CC: D048004A 00032D96
	v_add3_u32 v226, v150, v229, 1                             // 0000000067D4: D1FF00E2 0207CB96
	v_cndmask_b32_e64 v32, v226, v228, s[74:75]                // 0000000067DC: D1000020 012BC9E2
	v_cmp_u_f32_e64 s[74:75], v151, v151                       // 0000000067E4: D048004A 00032F97
	v_add3_u32 v226, v151, v229, 1                             // 0000000067EC: D1FF00E2 0207CB97
	v_cndmask_b32_e64 v33, v226, v228, s[74:75]                // 0000000067F4: D1000021 012BC9E2
	v_perm_b32 v149, v33, v32, s64                             // 0000000067FC: D1ED0095 01024121
	v_mfma_f32_16x16x16_bf16 v[56:59], a[102:103], a[14:15], v[56:59]// 000000006804: D3E10038 1CE21D66
	v_cmp_u_f32_e64 s[74:75], v152, v152                       // 00000000680C: D048004A 00033198
	v_add3_u32 v226, v152, v229, 1                             // 000000006814: D1FF00E2 0207CB98
	v_cndmask_b32_e64 v32, v226, v228, s[74:75]                // 00000000681C: D1000020 012BC9E2
	v_cmp_u_f32_e64 s[74:75], v153, v153                       // 000000006824: D048004A 00033399
	v_add3_u32 v226, v153, v229, 1                             // 00000000682C: D1FF00E2 0207CB99
	v_cndmask_b32_e64 v33, v226, v228, s[74:75]                // 000000006834: D1000021 012BC9E2
	v_perm_b32 v150, v33, v32, s64                             // 00000000683C: D1ED0096 01024121
	v_cmp_u_f32_e64 s[74:75], v154, v154                       // 000000006844: D048004A 0003359A
	v_add3_u32 v226, v154, v229, 1                             // 00000000684C: D1FF00E2 0207CB9A
	v_cndmask_b32_e64 v32, v226, v228, s[74:75]                // 000000006854: D1000020 012BC9E2
	v_cmp_u_f32_e64 s[74:75], v155, v155                       // 00000000685C: D048004A 0003379B
	v_add3_u32 v226, v155, v229, 1                             // 000000006864: D1FF00E2 0207CB9B
	v_cndmask_b32_e64 v33, v226, v228, s[74:75]                // 00000000686C: D1000021 012BC9E2
	v_perm_b32 v151, v33, v32, s64                             // 000000006874: D1ED0097 01024121
	v_mfma_f32_16x16x16_bf16 v[60:63], a[96:97], a[16:17], 0   // 00000000687C: D3E1003C 1A022160
	ds_write_b64 v26, v[148:149] offset:31232                  // 000000006884: D89A7A00 0000941A
	v_mfma_f32_16x16x16_bf16 v[60:63], a[98:99], a[18:19], v[60:63]// 00000000688C: D3E1003C 1CF22562
	v_mfma_f32_16x16x16_bf16 v[60:63], a[100:101], a[20:21], v[60:63]// 000000006894: D3E1003C 1CF22964
	ds_write_b64 v26, v[150:151] offset:31776                  // 00000000689C: D89A7C20 0000961A
	v_mfma_f32_16x16x16_bf16 v[60:63], a[102:103], a[22:23], v[60:63]// 0000000068A4: D3E1003C 1CF22D66
	v_mfma_f32_16x16x16_bf16 v[64:67], a[104:105], a[0:1], 0   // 0000000068AC: D3E10040 1A020168
	ds_read_b128 v[124:127], v18 offset:13056                  // 0000000068B4: D9FE3300 7C000012
	ds_write_b32 v17, v36                                      // 0000000068BC: D81A0000 00002411
	v_mfma_f32_16x16x16_bf16 v[64:67], a[106:107], a[2:3], v[64:67]// 0000000068C4: D3E10040 1D02056A
	v_mfma_f32_16x16x16_bf16 v[64:67], a[108:109], a[4:5], v[64:67]// 0000000068CC: D3E10040 1D02096C
	v_mfma_f32_16x16x16_bf16 v[64:67], a[110:111], a[6:7], v[64:67]// 0000000068D4: D3E10040 1D020D6E
	ds_read_b128 v[128:131], v18 offset:13568                  // 0000000068DC: D9FE3500 80000012
	ds_write_b32 v17, v37 offset:1056                          // 0000000068E4: D81A0420 00002511
	v_mfma_f32_16x16x16_bf16 v[68:71], a[104:105], a[8:9], 0   // 0000000068EC: D3E10044 1A021168
	v_mfma_f32_16x16x16_bf16 v[68:71], a[106:107], a[10:11], v[68:71]// 0000000068F4: D3E10044 1D12156A
	v_mfma_f32_16x16x16_bf16 v[68:71], a[108:109], a[12:13], v[68:71]// 0000000068FC: D3E10044 1D12196C
	ds_read_b128 v[132:135], v18 offset:15232                  // 000000006904: D9FE3B80 84000012
	ds_write_b32 v17, v38 offset:2176                          // 00000000690C: D81A0880 00002611
	v_mfma_f32_16x16x16_bf16 v[68:71], a[110:111], a[14:15], v[68:71]// 000000006914: D3E10044 1D121D6E
	v_mfma_f32_16x16x16_bf16 v[72:75], a[104:105], a[16:17], 0 // 00000000691C: D3E10048 1A022168
	v_mfma_f32_16x16x16_bf16 v[72:75], a[106:107], a[18:19], v[72:75]// 000000006924: D3E10048 1D22256A
	ds_read_b128 v[136:139], v18 offset:15744                  // 00000000692C: D9FE3D80 88000012
	ds_write_b32 v17, v39 offset:3232                          // 000000006934: D81A0CA0 00002711
	v_mfma_f32_16x16x16_bf16 v[72:75], a[108:109], a[20:21], v[72:75]// 00000000693C: D3E10048 1D22296C
	v_mfma_f32_16x16x16_bf16 v[72:75], a[110:111], a[22:23], v[72:75]// 000000006944: D3E10048 1D222D6E
	s_cmp_lt_i32 s73, 3                                        // 00000000694C: BF048349
	s_cbranch_scc0 label_0A6C                                  // 000000006950: BF840017
	s_cmp_eq_i32 s73, 1                                        // 000000006954: BF008149
	s_cbranch_scc1 label_0A5A                                  // 000000006958: BF850003
	s_cmp_eq_i32 s73, 2                                        // 00000000695C: BF008249
	s_cbranch_scc1 label_0A63                                  // 000000006960: BF85000A
	s_branch label_0A6C                                        // 000000006964: BF820012

0000000000006968 <label_0A5A>:
	v_mov_b32_e32 v56, v230                                    // 000000006968: 7E7003E6
	v_mov_b32_e32 v68, v230                                    // 00000000696C: 7E8803E6
	v_mov_b32_e32 v57, v230                                    // 000000006970: 7E7203E6
	v_mov_b32_e32 v69, v230                                    // 000000006974: 7E8A03E6
	v_mov_b32_e32 v58, v230                                    // 000000006978: 7E7403E6
	v_mov_b32_e32 v70, v230                                    // 00000000697C: 7E8C03E6
	v_mov_b32_e32 v59, v230                                    // 000000006980: 7E7603E6
	v_mov_b32_e32 v71, v230                                    // 000000006984: 7E8E03E6
	s_branch label_0A63                                        // 000000006988: BF820000

000000000000698c <label_0A63>:
	v_mov_b32_e32 v60, v230                                    // 00000000698C: 7E7803E6
	v_mov_b32_e32 v72, v230                                    // 000000006990: 7E9003E6
	v_mov_b32_e32 v61, v230                                    // 000000006994: 7E7A03E6
	v_mov_b32_e32 v73, v230                                    // 000000006998: 7E9203E6
	v_mov_b32_e32 v62, v230                                    // 00000000699C: 7E7C03E6
	v_mov_b32_e32 v74, v230                                    // 0000000069A0: 7E9403E6
	v_mov_b32_e32 v63, v230                                    // 0000000069A4: 7E7E03E6
	v_mov_b32_e32 v75, v230                                    // 0000000069A8: 7E9603E6
	s_branch label_0A6C                                        // 0000000069AC: BF820000

00000000000069b0 <label_0A6C>:
	s_waitcnt lgkmcnt(8)                                       // 0000000069B0: BF8CC87F
	s_barrier                                                  // 0000000069B4: BF8A0000
	v_mfma_f32_16x16x16_bf16 v[76:79], v[108:109], a[72:73], 0 // 0000000069B8: D3E1004C 1202916C
	ds_read_b128 a[96:99], v18 offset:4352                     // 0000000069C0: DBFE1100 60000012
	ds_read_b128 a[100:103], v18 offset:4864                   // 0000000069C8: DBFE1300 64000012
	v_mfma_f32_16x16x16_bf16 v[76:79], v[110:111], a[74:75], v[76:79]// 0000000069D0: D3E1004C 1532956E
	v_fma_f32 v52, v52, s57, -v140                             // 0000000069D8: D1CB0034 86307334
	v_fma_f32 v53, v53, s57, -v141                             // 0000000069E0: D1CB0035 86347335
	v_fma_f32 v54, v54, s57, -v142                             // 0000000069E8: D1CB0036 86387336
	v_fma_f32 v55, v55, s57, -v143                             // 0000000069F0: D1CB0037 863C7337
	v_fma_f32 v56, v56, s57, -v140                             // 0000000069F8: D1CB0038 86307338
	v_fma_f32 v57, v57, s57, -v141                             // 000000006A00: D1CB0039 86347339
	v_mfma_f32_16x16x16_bf16 v[76:79], v[112:113], a[76:77], v[76:79]// 000000006A08: D3E1004C 15329970
	v_fma_f32 v58, v58, s57, -v142                             // 000000006A10: D1CB003A 8638733A
	v_fma_f32 v59, v59, s57, -v143                             // 000000006A18: D1CB003B 863C733B
	v_fma_f32 v60, v60, s57, -v140                             // 000000006A20: D1CB003C 8630733C
	v_fma_f32 v61, v61, s57, -v141                             // 000000006A28: D1CB003D 8634733D
	v_fma_f32 v62, v62, s57, -v142                             // 000000006A30: D1CB003E 8638733E
	v_fma_f32 v63, v63, s57, -v143                             // 000000006A38: D1CB003F 863C733F
	v_mfma_f32_16x16x16_bf16 v[76:79], v[114:115], a[78:79], v[76:79]// 000000006A40: D3E1004C 15329D72
	v_fma_f32 v64, v64, s57, -v144                             // 000000006A48: D1CB0040 86407340
	v_fma_f32 v65, v65, s57, -v145                             // 000000006A50: D1CB0041 86447341
	v_fma_f32 v66, v66, s57, -v146                             // 000000006A58: D1CB0042 86487342
	v_fma_f32 v67, v67, s57, -v147                             // 000000006A60: D1CB0043 864C7343
	v_fma_f32 v68, v68, s57, -v144                             // 000000006A68: D1CB0044 86407344
	v_fma_f32 v69, v69, s57, -v145                             // 000000006A70: D1CB0045 86447345
	v_mfma_f32_16x16x16_bf16 v[80:83], v[108:109], a[80:81], 0 // 000000006A78: D3E10050 1202A16C
	ds_read_b128 a[104:107], v18 offset:6528                   // 000000006A80: DBFE1980 68000012
	ds_read_b128 a[108:111], v18 offset:7040                   // 000000006A88: DBFE1B80 6C000012
	v_mfma_f32_16x16x16_bf16 v[80:83], v[110:111], a[82:83], v[80:83]// 000000006A90: D3E10050 1542A56E
	v_fma_f32 v70, v70, s57, -v146                             // 000000006A98: D1CB0046 86487346
	v_fma_f32 v71, v71, s57, -v147                             // 000000006AA0: D1CB0047 864C7347
	v_fma_f32 v72, v72, s57, -v144                             // 000000006AA8: D1CB0048 86407348
	v_fma_f32 v73, v73, s57, -v145                             // 000000006AB0: D1CB0049 86447349
	v_fma_f32 v74, v74, s57, -v146                             // 000000006AB8: D1CB004A 8648734A
	v_fma_f32 v75, v75, s57, -v147                             // 000000006AC0: D1CB004B 864C734B
	v_mfma_f32_16x16x16_bf16 v[80:83], v[112:113], a[84:85], v[80:83]// 000000006AC8: D3E10050 1542A970
	v_exp_f32_e32 v52, v52                                     // 000000006AD0: 7E684134
	v_exp_f32_e32 v53, v53                                     // 000000006AD4: 7E6A4135
	v_mfma_f32_16x16x16_bf16 v[80:83], v[114:115], a[86:87], v[80:83]// 000000006AD8: D3E10050 1542AD72
	v_exp_f32_e32 v54, v54                                     // 000000006AE0: 7E6C4136
	v_exp_f32_e32 v55, v55                                     // 000000006AE4: 7E6E4137
	v_mfma_f32_16x16x16_bf16 v[84:87], v[108:109], a[88:89], 0 // 000000006AE8: D3E10054 1202B16C
	ds_read_b32 v156, v25 offset:31232                         // 000000006AF0: D86C7A00 9C000019
	ds_read_b32 v157, v25 offset:31248                         // 000000006AF8: D86C7A10 9D000019
	v_mfma_f32_16x16x16_bf16 v[84:87], v[110:111], a[90:91], v[84:87]// 000000006B00: D3E10054 1552B56E
	v_exp_f32_e32 v56, v56                                     // 000000006B08: 7E704138
	v_exp_f32_e32 v57, v57                                     // 000000006B0C: 7E724139
	v_mfma_f32_16x16x16_bf16 v[84:87], v[112:113], a[92:93], v[84:87]// 000000006B10: D3E10054 1552B970
	ds_read_b32 v158, v25 offset:31264                         // 000000006B18: D86C7A20 9E000019
	ds_read_b32 v159, v25 offset:31280                         // 000000006B20: D86C7A30 9F000019
	v_mfma_f32_16x16x16_bf16 v[84:87], v[114:115], a[94:95], v[84:87]// 000000006B28: D3E10054 1552BD72
	v_exp_f32_e32 v58, v58                                     // 000000006B30: 7E74413A
	v_exp_f32_e32 v59, v59                                     // 000000006B34: 7E76413B
	v_mfma_f32_16x16x16_bf16 v[88:91], v[116:117], a[72:73], 0 // 000000006B38: D3E10058 12029174
	v_exp_f32_e32 v60, v60                                     // 000000006B40: 7E78413C
	v_exp_f32_e32 v61, v61                                     // 000000006B44: 7E7A413D
	v_mfma_f32_16x16x16_bf16 v[88:91], v[118:119], a[74:75], v[88:91]// 000000006B48: D3E10058 15629576
	v_exp_f32_e32 v62, v62                                     // 000000006B50: 7E7C413E
	v_exp_f32_e32 v63, v63                                     // 000000006B54: 7E7E413F
	v_mfma_f32_16x16x16_bf16 v[88:91], v[120:121], a[76:77], v[88:91]// 000000006B58: D3E10058 15629978
	v_exp_f32_e32 v64, v64                                     // 000000006B60: 7E804140
	v_exp_f32_e32 v65, v65                                     // 000000006B64: 7E824141
	v_mfma_f32_16x16x16_bf16 v[88:91], v[122:123], a[78:79], v[88:91]// 000000006B68: D3E10058 15629D7A
	v_exp_f32_e32 v66, v66                                     // 000000006B70: 7E844142
	v_exp_f32_e32 v67, v67                                     // 000000006B74: 7E864143
	v_mfma_f32_16x16x16_bf16 v[92:95], v[116:117], a[80:81], 0 // 000000006B78: D3E1005C 1202A174
	v_exp_f32_e32 v68, v68                                     // 000000006B80: 7E884144
	v_exp_f32_e32 v69, v69                                     // 000000006B84: 7E8A4145
	v_mfma_f32_16x16x16_bf16 v[92:95], v[118:119], a[82:83], v[92:95]// 000000006B88: D3E1005C 1572A576
	v_exp_f32_e32 v70, v70                                     // 000000006B90: 7E8C4146
	v_exp_f32_e32 v71, v71                                     // 000000006B94: 7E8E4147
	v_mfma_f32_16x16x16_bf16 v[92:95], v[120:121], a[84:85], v[92:95]// 000000006B98: D3E1005C 1572A978
	v_exp_f32_e32 v72, v72                                     // 000000006BA0: 7E904148
	v_exp_f32_e32 v73, v73                                     // 000000006BA4: 7E924149
	v_mfma_f32_16x16x16_bf16 v[92:95], v[122:123], a[86:87], v[92:95]// 000000006BA8: D3E1005C 1572AD7A
	v_exp_f32_e32 v74, v74                                     // 000000006BB0: 7E94414A
	v_exp_f32_e32 v75, v75                                     // 000000006BB4: 7E96414B
	v_mfma_f32_16x16x16_bf16 v[96:99], v[116:117], a[88:89], 0 // 000000006BB8: D3E10060 1202B174
	v_cmp_u_f32_e64 s[74:75], v52, v52                         // 000000006BC0: D048004A 00026934
	v_add3_u32 v226, v52, v229, 1                              // 000000006BC8: D1FF00E2 0207CB34
	v_cndmask_b32_e64 v32, v226, v228, s[74:75]                // 000000006BD0: D1000020 012BC9E2
	v_cmp_u_f32_e64 s[74:75], v53, v53                         // 000000006BD8: D048004A 00026B35
	v_add3_u32 v226, v53, v229, 1                              // 000000006BE0: D1FF00E2 0207CB35
	v_cndmask_b32_e64 v33, v226, v228, s[74:75]                // 000000006BE8: D1000021 012BC9E2
	v_perm_b32 v164, v33, v32, s64                             // 000000006BF0: D1ED00A4 01024121
	v_cmp_u_f32_e64 s[74:75], v54, v54                         // 000000006BF8: D048004A 00026D36
	v_add3_u32 v226, v54, v229, 1                              // 000000006C00: D1FF00E2 0207CB36
	v_cndmask_b32_e64 v32, v226, v228, s[74:75]                // 000000006C08: D1000020 012BC9E2
	v_cmp_u_f32_e64 s[74:75], v55, v55                         // 000000006C10: D048004A 00026F37
	v_add3_u32 v226, v55, v229, 1                              // 000000006C18: D1FF00E2 0207CB37
	v_cndmask_b32_e64 v33, v226, v228, s[74:75]                // 000000006C20: D1000021 012BC9E2
	v_perm_b32 v165, v33, v32, s64                             // 000000006C28: D1ED00A5 01024121
	v_cmp_u_f32_e64 s[74:75], v56, v56                         // 000000006C30: D048004A 00027138
	v_add3_u32 v226, v56, v229, 1                              // 000000006C38: D1FF00E2 0207CB38
	v_cndmask_b32_e64 v32, v226, v228, s[74:75]                // 000000006C40: D1000020 012BC9E2
	v_cmp_u_f32_e64 s[74:75], v57, v57                         // 000000006C48: D048004A 00027339
	v_add3_u32 v226, v57, v229, 1                              // 000000006C50: D1FF00E2 0207CB39
	v_cndmask_b32_e64 v33, v226, v228, s[74:75]                // 000000006C58: D1000021 012BC9E2
	v_perm_b32 v166, v33, v32, s64                             // 000000006C60: D1ED00A6 01024121
	v_cmp_u_f32_e64 s[74:75], v58, v58                         // 000000006C68: D048004A 0002753A
	v_add3_u32 v226, v58, v229, 1                              // 000000006C70: D1FF00E2 0207CB3A
	v_cndmask_b32_e64 v32, v226, v228, s[74:75]                // 000000006C78: D1000020 012BC9E2
	v_cmp_u_f32_e64 s[74:75], v59, v59                         // 000000006C80: D048004A 0002773B
	v_add3_u32 v226, v59, v229, 1                              // 000000006C88: D1FF00E2 0207CB3B
	v_cndmask_b32_e64 v33, v226, v228, s[74:75]                // 000000006C90: D1000021 012BC9E2
	v_perm_b32 v167, v33, v32, s64                             // 000000006C98: D1ED00A7 01024121
	v_cmp_u_f32_e64 s[74:75], v60, v60                         // 000000006CA0: D048004A 0002793C
	v_add3_u32 v226, v60, v229, 1                              // 000000006CA8: D1FF00E2 0207CB3C
	v_cndmask_b32_e64 v32, v226, v228, s[74:75]                // 000000006CB0: D1000020 012BC9E2
	v_cmp_u_f32_e64 s[74:75], v61, v61                         // 000000006CB8: D048004A 00027B3D
	v_add3_u32 v226, v61, v229, 1                              // 000000006CC0: D1FF00E2 0207CB3D
	v_cndmask_b32_e64 v33, v226, v228, s[74:75]                // 000000006CC8: D1000021 012BC9E2
	v_perm_b32 v168, v33, v32, s64                             // 000000006CD0: D1ED00A8 01024121
	v_cmp_u_f32_e64 s[74:75], v62, v62                         // 000000006CD8: D048004A 00027D3E
	v_add3_u32 v226, v62, v229, 1                              // 000000006CE0: D1FF00E2 0207CB3E
	v_cndmask_b32_e64 v32, v226, v228, s[74:75]                // 000000006CE8: D1000020 012BC9E2
	v_cmp_u_f32_e64 s[74:75], v63, v63                         // 000000006CF0: D048004A 00027F3F
	v_add3_u32 v226, v63, v229, 1                              // 000000006CF8: D1FF00E2 0207CB3F
	v_cndmask_b32_e64 v33, v226, v228, s[74:75]                // 000000006D00: D1000021 012BC9E2
	v_perm_b32 v169, v33, v32, s64                             // 000000006D08: D1ED00A9 01024121
	v_mfma_f32_16x16x16_bf16 v[96:99], v[118:119], a[90:91], v[96:99]// 000000006D10: D3E10060 1582B576
	v_cmp_u_f32_e64 s[74:75], v64, v64                         // 000000006D18: D048004A 00028140
	v_add3_u32 v226, v64, v229, 1                              // 000000006D20: D1FF00E2 0207CB40
	v_cndmask_b32_e64 v32, v226, v228, s[74:75]                // 000000006D28: D1000020 012BC9E2
	v_cmp_u_f32_e64 s[74:75], v65, v65                         // 000000006D30: D048004A 00028341
	v_add3_u32 v226, v65, v229, 1                              // 000000006D38: D1FF00E2 0207CB41
	v_cndmask_b32_e64 v33, v226, v228, s[74:75]                // 000000006D40: D1000021 012BC9E2
	v_perm_b32 v170, v33, v32, s64                             // 000000006D48: D1ED00AA 01024121
	v_cmp_u_f32_e64 s[74:75], v66, v66                         // 000000006D50: D048004A 00028542
	v_add3_u32 v226, v66, v229, 1                              // 000000006D58: D1FF00E2 0207CB42
	v_cndmask_b32_e64 v32, v226, v228, s[74:75]                // 000000006D60: D1000020 012BC9E2
	v_cmp_u_f32_e64 s[74:75], v67, v67                         // 000000006D68: D048004A 00028743
	v_add3_u32 v226, v67, v229, 1                              // 000000006D70: D1FF00E2 0207CB43
	v_cndmask_b32_e64 v33, v226, v228, s[74:75]                // 000000006D78: D1000021 012BC9E2
	v_perm_b32 v171, v33, v32, s64                             // 000000006D80: D1ED00AB 01024121
	v_cmp_u_f32_e64 s[74:75], v68, v68                         // 000000006D88: D048004A 00028944
	v_add3_u32 v226, v68, v229, 1                              // 000000006D90: D1FF00E2 0207CB44
	v_cndmask_b32_e64 v32, v226, v228, s[74:75]                // 000000006D98: D1000020 012BC9E2
	v_cmp_u_f32_e64 s[74:75], v69, v69                         // 000000006DA0: D048004A 00028B45
	v_add3_u32 v226, v69, v229, 1                              // 000000006DA8: D1FF00E2 0207CB45
	v_cndmask_b32_e64 v33, v226, v228, s[74:75]                // 000000006DB0: D1000021 012BC9E2
	v_perm_b32 v172, v33, v32, s64                             // 000000006DB8: D1ED00AC 01024121
	v_cmp_u_f32_e64 s[74:75], v70, v70                         // 000000006DC0: D048004A 00028D46
	v_add3_u32 v226, v70, v229, 1                              // 000000006DC8: D1FF00E2 0207CB46
	v_cndmask_b32_e64 v32, v226, v228, s[74:75]                // 000000006DD0: D1000020 012BC9E2
	v_cmp_u_f32_e64 s[74:75], v71, v71                         // 000000006DD8: D048004A 00028F47
	v_add3_u32 v226, v71, v229, 1                              // 000000006DE0: D1FF00E2 0207CB47
	v_cndmask_b32_e64 v33, v226, v228, s[74:75]                // 000000006DE8: D1000021 012BC9E2
	v_perm_b32 v173, v33, v32, s64                             // 000000006DF0: D1ED00AD 01024121
	v_cmp_u_f32_e64 s[74:75], v72, v72                         // 000000006DF8: D048004A 00029148
	v_add3_u32 v226, v72, v229, 1                              // 000000006E00: D1FF00E2 0207CB48
	v_cndmask_b32_e64 v32, v226, v228, s[74:75]                // 000000006E08: D1000020 012BC9E2
	v_cmp_u_f32_e64 s[74:75], v73, v73                         // 000000006E10: D048004A 00029349
	v_add3_u32 v226, v73, v229, 1                              // 000000006E18: D1FF00E2 0207CB49
	v_cndmask_b32_e64 v33, v226, v228, s[74:75]                // 000000006E20: D1000021 012BC9E2
	v_perm_b32 v174, v33, v32, s64                             // 000000006E28: D1ED00AE 01024121
	v_cmp_u_f32_e64 s[74:75], v74, v74                         // 000000006E30: D048004A 0002954A
	v_add3_u32 v226, v74, v229, 1                              // 000000006E38: D1FF00E2 0207CB4A
	v_cndmask_b32_e64 v32, v226, v228, s[74:75]                // 000000006E40: D1000020 012BC9E2
	v_cmp_u_f32_e64 s[74:75], v75, v75                         // 000000006E48: D048004A 0002974B
	v_add3_u32 v226, v75, v229, 1                              // 000000006E50: D1FF00E2 0207CB4B
	v_cndmask_b32_e64 v33, v226, v228, s[74:75]                // 000000006E58: D1000021 012BC9E2
	v_perm_b32 v175, v33, v32, s64                             // 000000006E60: D1ED00AF 01024121
	v_mfma_f32_16x16x16_bf16 v[96:99], v[120:121], a[92:93], v[96:99]// 000000006E68: D3E10060 1582B978
	s_add_u32 s32, s66, s32                                    // 000000006E70: 80202042
	s_addc_u32 s33, 0, s33                                     // 000000006E74: 82212180
	v_mfma_f32_16x16x16_bf16 v[96:99], v[122:123], a[94:95], v[96:99]// 000000006E78: D3E10060 1582BD7A
	s_waitcnt lgkmcnt(0)                                       // 000000006E80: BF8CC07F
	s_barrier                                                  // 000000006E84: BF8A0000
	v_mfma_f32_16x16x16_bf16 v[178:181], v[124:125], v[164:165], v[178:181]// 000000006E88: D3E100B2 06CB497C
	v_subrev_f32_dpp v76, v176, v76 quad_perm:[0,0,0,0] row_mask:0xf bank_mask:0xf// 000000006E90: 069898FA FF0000B0
	v_subrev_f32_dpp v77, v176, v77 quad_perm:[1,1,1,1] row_mask:0xf bank_mask:0xf// 000000006E98: 069A9AFA FF0055B0
	v_subrev_f32_dpp v78, v176, v78 quad_perm:[2,2,2,2] row_mask:0xf bank_mask:0xf// 000000006EA0: 069C9CFA FF00AAB0
	v_subrev_f32_dpp v79, v176, v79 quad_perm:[3,3,3,3] row_mask:0xf bank_mask:0xf// 000000006EA8: 069E9EFA FF00FFB0
	v_subrev_f32_dpp v80, v176, v80 quad_perm:[0,0,0,0] row_mask:0xf bank_mask:0xf// 000000006EB0: 06A0A0FA FF0000B0
	v_subrev_f32_dpp v81, v176, v81 quad_perm:[1,1,1,1] row_mask:0xf bank_mask:0xf// 000000006EB8: 06A2A2FA FF0055B0
	v_mfma_f32_16x16x16_bf16 v[182:185], v[126:127], v[164:165], v[182:185]// 000000006EC0: D3E100B6 06DB497E
	v_subrev_f32_dpp v82, v176, v82 quad_perm:[2,2,2,2] row_mask:0xf bank_mask:0xf// 000000006EC8: 06A4A4FA FF00AAB0
	v_subrev_f32_dpp v83, v176, v83 quad_perm:[3,3,3,3] row_mask:0xf bank_mask:0xf// 000000006ED0: 06A6A6FA FF00FFB0
	v_subrev_f32_dpp v84, v176, v84 quad_perm:[0,0,0,0] row_mask:0xf bank_mask:0xf// 000000006ED8: 06A8A8FA FF0000B0
	v_subrev_f32_dpp v85, v176, v85 quad_perm:[1,1,1,1] row_mask:0xf bank_mask:0xf// 000000006EE0: 06AAAAFA FF0055B0
	v_subrev_f32_dpp v86, v176, v86 quad_perm:[2,2,2,2] row_mask:0xf bank_mask:0xf// 000000006EE8: 06ACACFA FF00AAB0
	v_subrev_f32_dpp v87, v176, v87 quad_perm:[3,3,3,3] row_mask:0xf bank_mask:0xf// 000000006EF0: 06AEAEFA FF00FFB0
	v_mfma_f32_16x16x16_bf16 v[186:189], v[128:129], v[164:165], v[186:189]// 000000006EF8: D3E100BA 06EB4980
	v_mul_f32_e32 v76, v52, v76                                // 000000006F00: 0A989934
	v_mul_f32_e32 v77, v53, v77                                // 000000006F04: 0A9A9B35
	v_mul_f32_e32 v78, v54, v78                                // 000000006F08: 0A9C9D36
	v_mul_f32_e32 v79, v55, v79                                // 000000006F0C: 0A9E9F37
	v_mul_f32_e32 v80, v56, v80                                // 000000006F10: 0AA0A138
	v_mul_f32_e32 v81, v57, v81                                // 000000006F14: 0AA2A339
	v_mfma_f32_16x16x16_bf16 v[190:193], v[130:131], v[164:165], v[190:193]// 000000006F18: D3E100BE 06FB4982
	v_mul_f32_e32 v82, v58, v82                                // 000000006F20: 0AA4A53A
	v_mul_f32_e32 v83, v59, v83                                // 000000006F24: 0AA6A73B
	v_mul_f32_e32 v84, v60, v84                                // 000000006F28: 0AA8A93C
	v_mul_f32_e32 v85, v61, v85                                // 000000006F2C: 0AAAAB3D
	v_mul_f32_e32 v86, v62, v86                                // 000000006F30: 0AACAD3E
	v_mul_f32_e32 v87, v63, v87                                // 000000006F34: 0AAEAF3F
	v_mfma_f32_16x16x16_bf16 v[194:197], v[124:125], v[166:167], v[194:197]// 000000006F38: D3E100C2 070B4D7C
	v_cmp_u_f32_e64 s[74:75], v76, v76                         // 000000006F40: D048004A 0002994C
	v_add3_u32 v226, v76, v229, 1                              // 000000006F48: D1FF00E2 0207CB4C
	v_cndmask_b32_e64 v32, v226, v228, s[74:75]                // 000000006F50: D1000020 012BC9E2
	v_cmp_u_f32_e64 s[74:75], v77, v77                         // 000000006F58: D048004A 00029B4D
	v_add3_u32 v226, v77, v229, 1                              // 000000006F60: D1FF00E2 0207CB4D
	v_cndmask_b32_e64 v33, v226, v228, s[74:75]                // 000000006F68: D1000021 012BC9E2
	v_perm_b32 v76, v33, v32, s64                              // 000000006F70: D1ED004C 01024121
	v_cmp_u_f32_e64 s[74:75], v78, v78                         // 000000006F78: D048004A 00029D4E
	v_add3_u32 v226, v78, v229, 1                              // 000000006F80: D1FF00E2 0207CB4E
	v_cndmask_b32_e64 v32, v226, v228, s[74:75]                // 000000006F88: D1000020 012BC9E2
	v_cmp_u_f32_e64 s[74:75], v79, v79                         // 000000006F90: D048004A 00029F4F
	v_add3_u32 v226, v79, v229, 1                              // 000000006F98: D1FF00E2 0207CB4F
	v_cndmask_b32_e64 v33, v226, v228, s[74:75]                // 000000006FA0: D1000021 012BC9E2
	v_perm_b32 v77, v33, v32, s64                              // 000000006FA8: D1ED004D 01024121
	v_cmp_u_f32_e64 s[74:75], v80, v80                         // 000000006FB0: D048004A 0002A150
	v_add3_u32 v226, v80, v229, 1                              // 000000006FB8: D1FF00E2 0207CB50
	v_cndmask_b32_e64 v32, v226, v228, s[74:75]                // 000000006FC0: D1000020 012BC9E2
	v_cmp_u_f32_e64 s[74:75], v81, v81                         // 000000006FC8: D048004A 0002A351
	v_add3_u32 v226, v81, v229, 1                              // 000000006FD0: D1FF00E2 0207CB51
	v_cndmask_b32_e64 v33, v226, v228, s[74:75]                // 000000006FD8: D1000021 012BC9E2
	v_perm_b32 v78, v33, v32, s64                              // 000000006FE0: D1ED004E 01024121
	v_cmp_u_f32_e64 s[74:75], v82, v82                         // 000000006FE8: D048004A 0002A552
	v_add3_u32 v226, v82, v229, 1                              // 000000006FF0: D1FF00E2 0207CB52
	v_cndmask_b32_e64 v32, v226, v228, s[74:75]                // 000000006FF8: D1000020 012BC9E2
	v_cmp_u_f32_e64 s[74:75], v83, v83                         // 000000007000: D048004A 0002A753
	v_add3_u32 v226, v83, v229, 1                              // 000000007008: D1FF00E2 0207CB53
	v_cndmask_b32_e64 v33, v226, v228, s[74:75]                // 000000007010: D1000021 012BC9E2
	v_perm_b32 v79, v33, v32, s64                              // 000000007018: D1ED004F 01024121
	v_cmp_u_f32_e64 s[74:75], v84, v84                         // 000000007020: D048004A 0002A954
	v_add3_u32 v226, v84, v229, 1                              // 000000007028: D1FF00E2 0207CB54
	v_cndmask_b32_e64 v32, v226, v228, s[74:75]                // 000000007030: D1000020 012BC9E2
	v_cmp_u_f32_e64 s[74:75], v85, v85                         // 000000007038: D048004A 0002AB55
	v_add3_u32 v226, v85, v229, 1                              // 000000007040: D1FF00E2 0207CB55
	v_cndmask_b32_e64 v33, v226, v228, s[74:75]                // 000000007048: D1000021 012BC9E2
	v_perm_b32 v80, v33, v32, s64                              // 000000007050: D1ED0050 01024121
	v_cmp_u_f32_e64 s[74:75], v86, v86                         // 000000007058: D048004A 0002AD56
	v_add3_u32 v226, v86, v229, 1                              // 000000007060: D1FF00E2 0207CB56
	v_cndmask_b32_e64 v32, v226, v228, s[74:75]                // 000000007068: D1000020 012BC9E2
	v_cmp_u_f32_e64 s[74:75], v87, v87                         // 000000007070: D048004A 0002AF57
	v_add3_u32 v226, v87, v229, 1                              // 000000007078: D1FF00E2 0207CB57
	v_cndmask_b32_e64 v33, v226, v228, s[74:75]                // 000000007080: D1000021 012BC9E2
	v_perm_b32 v81, v33, v32, s64                              // 000000007088: D1ED0051 01024121
	v_mfma_f32_16x16x16_bf16 v[198:201], v[126:127], v[166:167], v[198:201]// 000000007090: D3E100C6 071B4D7E
	v_mov_b32_dpp v22, v76 quad_perm:[1,0,3,2] row_mask:0xf bank_mask:0xf// 000000007098: 7E2C02FA FF00B14C
	v_perm_b32 v52, v22, v76, v21                              // 0000000070A0: D1ED0034 04569916
	v_mov_b32_dpp v22, v77 quad_perm:[1,0,3,2] row_mask:0xf bank_mask:0xf// 0000000070A8: 7E2C02FA FF00B14D
	v_perm_b32 v53, v22, v77, v21                              // 0000000070B0: D1ED0035 04569B16
	v_mov_b32_dpp v22, v78 quad_perm:[1,0,3,2] row_mask:0xf bank_mask:0xf// 0000000070B8: 7E2C02FA FF00B14E
	v_perm_b32 v54, v22, v78, v21                              // 0000000070C0: D1ED0036 04569D16
	v_mfma_f32_16x16x16_bf16 v[202:205], v[128:129], v[166:167], v[202:205]// 0000000070C8: D3E100CA 072B4D80
	v_mov_b32_dpp v22, v79 quad_perm:[1,0,3,2] row_mask:0xf bank_mask:0xf// 0000000070D0: 7E2C02FA FF00B14F
	v_perm_b32 v55, v22, v79, v21                              // 0000000070D8: D1ED0037 04569F16
	v_mov_b32_dpp v22, v80 quad_perm:[1,0,3,2] row_mask:0xf bank_mask:0xf// 0000000070E0: 7E2C02FA FF00B150
	v_perm_b32 v56, v22, v80, v21                              // 0000000070E8: D1ED0038 0456A116
	v_mov_b32_dpp v22, v81 quad_perm:[1,0,3,2] row_mask:0xf bank_mask:0xf// 0000000070F0: 7E2C02FA FF00B151
	v_perm_b32 v57, v22, v81, v21                              // 0000000070F8: D1ED0039 0456A316
	v_mfma_f32_16x16x16_bf16 v[206:209], v[130:131], v[166:167], v[206:209]// 000000007100: D3E100CE 073B4D82
	ds_write_b32 v24, v52 offset:17408                         // 000000007108: D81A4400 00003418
	ds_write_b32 v24, v53 offset:17952                         // 000000007110: D81A4620 00003518
	v_mfma_f32_16x16x16_bf16 v[210:213], v[124:125], v[168:169], v[210:213]// 000000007118: D3E100D2 074B517C
	v_subrev_f32_dpp v88, v177, v88 quad_perm:[0,0,0,0] row_mask:0xf bank_mask:0xf// 000000007120: 06B0B0FA FF0000B1
	v_subrev_f32_dpp v89, v177, v89 quad_perm:[1,1,1,1] row_mask:0xf bank_mask:0xf// 000000007128: 06B2B2FA FF0055B1
	v_subrev_f32_dpp v90, v177, v90 quad_perm:[2,2,2,2] row_mask:0xf bank_mask:0xf// 000000007130: 06B4B4FA FF00AAB1
	v_subrev_f32_dpp v91, v177, v91 quad_perm:[3,3,3,3] row_mask:0xf bank_mask:0xf// 000000007138: 06B6B6FA FF00FFB1
	v_subrev_f32_dpp v92, v177, v92 quad_perm:[0,0,0,0] row_mask:0xf bank_mask:0xf// 000000007140: 06B8B8FA FF0000B1
	v_subrev_f32_dpp v93, v177, v93 quad_perm:[1,1,1,1] row_mask:0xf bank_mask:0xf// 000000007148: 06BABAFA FF0055B1
	v_mfma_f32_16x16x16_bf16 v[214:217], v[126:127], v[168:169], v[214:217]// 000000007150: D3E100D6 075B517E
	ds_write_b32 v24, v54 offset:19712                         // 000000007158: D81A4D00 00003618
	ds_write_b32 v24, v55 offset:20256                         // 000000007160: D81A4F20 00003718
	v_mfma_f32_16x16x16_bf16 v[218:221], v[128:129], v[168:169], v[218:221]// 000000007168: D3E100DA 076B5180
	v_subrev_f32_dpp v94, v177, v94 quad_perm:[2,2,2,2] row_mask:0xf bank_mask:0xf// 000000007170: 06BCBCFA FF00AAB1
	v_subrev_f32_dpp v95, v177, v95 quad_perm:[3,3,3,3] row_mask:0xf bank_mask:0xf// 000000007178: 06BEBEFA FF00FFB1
	v_subrev_f32_dpp v96, v177, v96 quad_perm:[0,0,0,0] row_mask:0xf bank_mask:0xf// 000000007180: 06C0C0FA FF0000B1
	v_subrev_f32_dpp v97, v177, v97 quad_perm:[1,1,1,1] row_mask:0xf bank_mask:0xf// 000000007188: 06C2C2FA FF0055B1
	v_subrev_f32_dpp v98, v177, v98 quad_perm:[2,2,2,2] row_mask:0xf bank_mask:0xf// 000000007190: 06C4C4FA FF00AAB1
	v_subrev_f32_dpp v99, v177, v99 quad_perm:[3,3,3,3] row_mask:0xf bank_mask:0xf// 000000007198: 06C6C6FA FF00FFB1
	v_mfma_f32_16x16x16_bf16 v[222:225], v[130:131], v[168:169], v[222:225]// 0000000071A0: D3E100DE 077B5182
	ds_write_b32 v24, v56 offset:22016                         // 0000000071A8: D81A5600 00003818
	ds_write_b32 v24, v57 offset:22560                         // 0000000071B0: D81A5820 00003918
	v_mfma_f32_16x16x16_bf16 v[178:181], v[132:133], v[170:171], v[178:181]// 0000000071B8: D3E100B2 06CB5584
	v_mul_f32_e32 v88, v64, v88                                // 0000000071C0: 0AB0B140
	v_mul_f32_e32 v89, v65, v89                                // 0000000071C4: 0AB2B341
	v_mul_f32_e32 v90, v66, v90                                // 0000000071C8: 0AB4B542
	v_mul_f32_e32 v91, v67, v91                                // 0000000071CC: 0AB6B743
	v_mul_f32_e32 v92, v68, v92                                // 0000000071D0: 0AB8B944
	v_mul_f32_e32 v93, v69, v93                                // 0000000071D4: 0ABABB45
	v_mfma_f32_16x16x16_bf16 v[182:185], v[134:135], v[170:171], v[182:185]// 0000000071D8: D3E100B6 06DB5586
	v_mul_f32_e32 v94, v70, v94                                // 0000000071E0: 0ABCBD46
	v_mul_f32_e32 v95, v71, v95                                // 0000000071E4: 0ABEBF47
	v_mul_f32_e32 v96, v72, v96                                // 0000000071E8: 0AC0C148
	v_mul_f32_e32 v97, v73, v97                                // 0000000071EC: 0AC2C349
	v_mul_f32_e32 v98, v74, v98                                // 0000000071F0: 0AC4C54A
	v_mul_f32_e32 v99, v75, v99                                // 0000000071F4: 0AC6C74B
	v_mfma_f32_16x16x16_bf16 v[186:189], v[136:137], v[170:171], v[186:189]// 0000000071F8: D3E100BA 06EB5588
	v_cmp_u_f32_e64 s[74:75], v88, v88                         // 000000007200: D048004A 0002B158
	v_add3_u32 v226, v88, v229, 1                              // 000000007208: D1FF00E2 0207CB58
	v_cndmask_b32_e64 v32, v226, v228, s[74:75]                // 000000007210: D1000020 012BC9E2
	v_cmp_u_f32_e64 s[74:75], v89, v89                         // 000000007218: D048004A 0002B359
	v_add3_u32 v226, v89, v229, 1                              // 000000007220: D1FF00E2 0207CB59
	v_cndmask_b32_e64 v33, v226, v228, s[74:75]                // 000000007228: D1000021 012BC9E2
	v_perm_b32 v82, v33, v32, s64                              // 000000007230: D1ED0052 01024121
	v_cmp_u_f32_e64 s[74:75], v90, v90                         // 000000007238: D048004A 0002B55A
	v_add3_u32 v226, v90, v229, 1                              // 000000007240: D1FF00E2 0207CB5A
	v_cndmask_b32_e64 v32, v226, v228, s[74:75]                // 000000007248: D1000020 012BC9E2
	v_cmp_u_f32_e64 s[74:75], v91, v91                         // 000000007250: D048004A 0002B75B
	v_add3_u32 v226, v91, v229, 1                              // 000000007258: D1FF00E2 0207CB5B
	v_cndmask_b32_e64 v33, v226, v228, s[74:75]                // 000000007260: D1000021 012BC9E2
	v_perm_b32 v83, v33, v32, s64                              // 000000007268: D1ED0053 01024121
	v_cmp_u_f32_e64 s[74:75], v92, v92                         // 000000007270: D048004A 0002B95C
	v_add3_u32 v226, v92, v229, 1                              // 000000007278: D1FF00E2 0207CB5C
	v_cndmask_b32_e64 v32, v226, v228, s[74:75]                // 000000007280: D1000020 012BC9E2
	v_cmp_u_f32_e64 s[74:75], v93, v93                         // 000000007288: D048004A 0002BB5D
	v_add3_u32 v226, v93, v229, 1                              // 000000007290: D1FF00E2 0207CB5D
	v_cndmask_b32_e64 v33, v226, v228, s[74:75]                // 000000007298: D1000021 012BC9E2
	v_perm_b32 v84, v33, v32, s64                              // 0000000072A0: D1ED0054 01024121
	v_cmp_u_f32_e64 s[74:75], v94, v94                         // 0000000072A8: D048004A 0002BD5E
	v_add3_u32 v226, v94, v229, 1                              // 0000000072B0: D1FF00E2 0207CB5E
	v_cndmask_b32_e64 v32, v226, v228, s[74:75]                // 0000000072B8: D1000020 012BC9E2
	v_cmp_u_f32_e64 s[74:75], v95, v95                         // 0000000072C0: D048004A 0002BF5F
	v_add3_u32 v226, v95, v229, 1                              // 0000000072C8: D1FF00E2 0207CB5F
	v_cndmask_b32_e64 v33, v226, v228, s[74:75]                // 0000000072D0: D1000021 012BC9E2
	v_perm_b32 v85, v33, v32, s64                              // 0000000072D8: D1ED0055 01024121
	v_cmp_u_f32_e64 s[74:75], v96, v96                         // 0000000072E0: D048004A 0002C160
	v_add3_u32 v226, v96, v229, 1                              // 0000000072E8: D1FF00E2 0207CB60
	v_cndmask_b32_e64 v32, v226, v228, s[74:75]                // 0000000072F0: D1000020 012BC9E2
	v_cmp_u_f32_e64 s[74:75], v97, v97                         // 0000000072F8: D048004A 0002C361
	v_add3_u32 v226, v97, v229, 1                              // 000000007300: D1FF00E2 0207CB61
	v_cndmask_b32_e64 v33, v226, v228, s[74:75]                // 000000007308: D1000021 012BC9E2
	v_perm_b32 v86, v33, v32, s64                              // 000000007310: D1ED0056 01024121
	v_cmp_u_f32_e64 s[74:75], v98, v98                         // 000000007318: D048004A 0002C562
	v_add3_u32 v226, v98, v229, 1                              // 000000007320: D1FF00E2 0207CB62
	v_cndmask_b32_e64 v32, v226, v228, s[74:75]                // 000000007328: D1000020 012BC9E2
	v_cmp_u_f32_e64 s[74:75], v99, v99                         // 000000007330: D048004A 0002C763
	v_add3_u32 v226, v99, v229, 1                              // 000000007338: D1FF00E2 0207CB63
	v_cndmask_b32_e64 v33, v226, v228, s[74:75]                // 000000007340: D1000021 012BC9E2
	v_perm_b32 v87, v33, v32, s64                              // 000000007348: D1ED0057 01024121
	v_mfma_f32_16x16x16_bf16 v[190:193], v[138:139], v[170:171], v[190:193]// 000000007350: D3E100BE 06FB558A
	v_mov_b32_dpp v22, v82 quad_perm:[1,0,3,2] row_mask:0xf bank_mask:0xf// 000000007358: 7E2C02FA FF00B152
	v_perm_b32 v58, v22, v82, v21                              // 000000007360: D1ED003A 0456A516
	v_mov_b32_dpp v22, v83 quad_perm:[1,0,3,2] row_mask:0xf bank_mask:0xf// 000000007368: 7E2C02FA FF00B153
	v_perm_b32 v59, v22, v83, v21                              // 000000007370: D1ED003B 0456A716
	v_mov_b32_dpp v22, v84 quad_perm:[1,0,3,2] row_mask:0xf bank_mask:0xf// 000000007378: 7E2C02FA FF00B154
	v_perm_b32 v60, v22, v84, v21                              // 000000007380: D1ED003C 0456A916
	v_mfma_f32_16x16x16_bf16 v[194:197], v[132:133], v[172:173], v[194:197]// 000000007388: D3E100C2 070B5984
	v_mov_b32_dpp v22, v85 quad_perm:[1,0,3,2] row_mask:0xf bank_mask:0xf// 000000007390: 7E2C02FA FF00B155
	v_perm_b32 v61, v22, v85, v21                              // 000000007398: D1ED003D 0456AB16
	v_mov_b32_dpp v22, v86 quad_perm:[1,0,3,2] row_mask:0xf bank_mask:0xf// 0000000073A0: 7E2C02FA FF00B156
	v_perm_b32 v62, v22, v86, v21                              // 0000000073A8: D1ED003E 0456AD16
	v_mov_b32_dpp v22, v87 quad_perm:[1,0,3,2] row_mask:0xf bank_mask:0xf// 0000000073B0: 7E2C02FA FF00B157
	v_perm_b32 v63, v22, v87, v21                              // 0000000073B8: D1ED003F 0456AF16
	v_mfma_f32_16x16x16_bf16 v[198:201], v[134:135], v[172:173], v[198:201]// 0000000073C0: D3E100C6 071B5986
	ds_write_b32 v24, v58 offset:24320                         // 0000000073C8: D81A5F00 00003A18
	ds_write_b32 v24, v59 offset:24864                         // 0000000073D0: D81A6120 00003B18
	v_mfma_f32_16x16x16_bf16 v[202:205], v[136:137], v[172:173], v[202:205]// 0000000073D8: D3E100CA 072B5988
	v_mfma_f32_16x16x16_bf16 v[206:209], v[138:139], v[172:173], v[206:209]// 0000000073E0: D3E100CE 073B598A
	ds_write_b32 v24, v60 offset:26624                         // 0000000073E8: D81A6800 00003C18
	ds_write_b32 v24, v61 offset:27168                         // 0000000073F0: D81A6A20 00003D18
	ds_write_b32 v24, v62 offset:28928                         // 0000000073F8: D81A7100 00003E18
	ds_write_b32 v24, v63 offset:29472                         // 000000007400: D81A7320 00003F18
	v_mfma_f32_16x16x16_bf16 v[210:213], v[132:133], v[174:175], v[210:213]// 000000007408: D3E100D2 074B5D84
	v_mfma_f32_16x16x16_bf16 v[214:217], v[134:135], v[174:175], v[214:217]// 000000007410: D3E100D6 075B5D86
	ds_write_b32 v19, v100 offset:4352                         // 000000007418: D81A1100 00006413
	ds_write_b32 v19, v101 offset:5408                         // 000000007420: D81A1520 00006513
	v_mfma_f32_16x16x16_bf16 v[218:221], v[136:137], v[174:175], v[218:221]// 000000007428: D3E100DA 076B5D88
	s_nop 0                                                    // 000000007430: BF800000
	s_nop 0                                                    // 000000007434: BF800000
	;; [unrolled: 1-line block ×3, first 2 shown]
	v_mfma_f32_16x16x16_bf16 v[222:225], v[138:139], v[174:175], v[222:225]// 00000000743C: D3E100DE 077B5D8A
	ds_write_b32 v19, v102 offset:6528                         // 000000007444: D81A1980 00006613
	ds_write_b32 v19, v103 offset:7584                         // 00000000744C: D81A1DA0 00006713
	s_barrier                                                  // 000000007454: BF8A0000
	v_mfma_f32_16x16x16_bf16 a[112:115], a[96:97], v[76:77], a[112:115]// 000000007458: D3E18070 0DC29960
	global_atomic_pk_add_bf16 v6, v156, s[32:33]               // 000000007460: DD488000 00209C06
	v_mfma_f32_16x16x16_bf16 a[116:119], a[98:99], v[76:77], a[116:119]// 000000007468: D3E18074 0DD29962
	ds_read_b32 v140, v27 offset:35584                         // 000000007470: D86C8B00 8C00001B
	ds_read_b32 v144, v27 offset:35648                         // 000000007478: D86C8B40 9000001B
	ds_read_b32 v176, v27 offset:35840                         // 000000007480: D86C8C00 B000001B
	ds_read_b32 v177, v27 offset:35904                         // 000000007488: D86C8C40 B100001B
	v_mfma_f32_16x16x16_bf16 a[120:123], a[100:101], v[76:77], a[120:123]// 000000007490: D3E18078 0DE29964
	s_waitcnt lgkmcnt(8)                                       // 000000007498: BF8CC87F
	s_barrier                                                  // 00000000749C: BF8A0000
	v_mfma_f32_16x16x16_bf16 a[124:127], a[102:103], v[76:77], a[124:127]// 0000000074A0: D3E1807C 0DF29966
	ds_read_b128 v[52:55], v23 offset:17408                    // 0000000074A8: D9FE4400 34000017
	v_mfma_f32_16x16x16_bf16 a[128:131], a[96:97], v[78:79], a[128:131]// 0000000074B0: D3E18080 0E029D60
	v_mfma_f32_16x16x16_bf16 a[132:135], a[98:99], v[78:79], a[132:135]// 0000000074B8: D3E18084 0E129D62
	ds_read_b128 v[56:59], v23 offset:18560                    // 0000000074C0: D9FE4880 38000017
	v_mfma_f32_16x16x16_bf16 a[136:139], a[100:101], v[78:79], a[136:139]// 0000000074C8: D3E18088 0E229D64
	global_atomic_pk_add_bf16 v8, v157, s[32:33]               // 0000000074D0: DD488000 00209D08
	v_mfma_f32_16x16x16_bf16 a[140:143], a[102:103], v[78:79], a[140:143]// 0000000074D8: D3E1808C 0E329D66
	ds_read_b128 v[60:63], v23 offset:19712                    // 0000000074E0: D9FE4D00 3C000017
	v_mfma_f32_16x16x16_bf16 a[144:147], a[96:97], v[80:81], a[144:147]// 0000000074E8: D3E18090 0E42A160
	v_mfma_f32_16x16x16_bf16 a[148:151], a[98:99], v[80:81], a[148:151]// 0000000074F0: D3E18094 0E52A162
	ds_read_b128 v[64:67], v23 offset:20864                    // 0000000074F8: D9FE5180 40000017
	v_mfma_f32_16x16x16_bf16 a[152:155], a[100:101], v[80:81], a[152:155]// 000000007500: D3E18098 0E62A164
	v_mfma_f32_16x16x16_bf16 a[156:159], a[102:103], v[80:81], a[156:159]// 000000007508: D3E1809C 0E72A166
	ds_read_b128 v[68:71], v23 offset:22016                    // 000000007510: D9FE5600 44000017
	v_mfma_f32_16x16x16_bf16 a[112:115], a[104:105], v[82:83], a[112:115]// 000000007518: D3E18070 0DC2A568
	global_atomic_pk_add_bf16 v10, v158, s[32:33]              // 000000007520: DD488000 00209E0A
	v_mfma_f32_16x16x16_bf16 a[116:119], a[106:107], v[82:83], a[116:119]// 000000007528: D3E18074 0DD2A56A
	ds_read_b128 v[72:75], v23 offset:23168                    // 000000007530: D9FE5A80 48000017
	v_mfma_f32_16x16x16_bf16 a[120:123], a[108:109], v[82:83], a[120:123]// 000000007538: D3E18078 0DE2A56C
	v_mfma_f32_16x16x16_bf16 a[124:127], a[110:111], v[82:83], a[124:127]// 000000007540: D3E1807C 0DF2A56E
	ds_write_b32 v19, v104 offset:13056                        // 000000007548: D81A3300 00006813
	v_mfma_f32_16x16x16_bf16 a[128:131], a[104:105], v[84:85], a[128:131]// 000000007550: D3E18080 0E02A968
	v_mfma_f32_16x16x16_bf16 a[132:135], a[106:107], v[84:85], a[132:135]// 000000007558: D3E18084 0E12A96A
	ds_write_b32 v19, v105 offset:14112                        // 000000007560: D81A3720 00006913
	v_mfma_f32_16x16x16_bf16 a[136:139], a[108:109], v[84:85], a[136:139]// 000000007568: D3E18088 0E22A96C
	global_atomic_pk_add_bf16 v12, v159, s[32:33]              // 000000007570: DD488000 00209F0C
	v_mfma_f32_16x16x16_bf16 a[140:143], a[110:111], v[84:85], a[140:143]// 000000007578: D3E1808C 0E32A96E
	ds_write_b32 v19, v106 offset:15232                        // 000000007580: D81A3B80 00006A13
	v_mfma_f32_16x16x16_bf16 a[144:147], a[104:105], v[86:87], a[144:147]// 000000007588: D3E18090 0E42AD68
	v_mfma_f32_16x16x16_bf16 a[148:151], a[106:107], v[86:87], a[148:151]// 000000007590: D3E18094 0E52AD6A
	ds_write_b32 v19, v107 offset:16288                        // 000000007598: D81A3FA0 00006B13
	v_mfma_f32_16x16x16_bf16 a[152:155], a[108:109], v[86:87], a[152:155]// 0000000075A0: D3E18098 0E62AD6C
	v_mfma_f32_16x16x16_bf16 a[156:159], a[110:111], v[86:87], a[156:159]// 0000000075A8: D3E1809C 0E72AD6E
	s_waitcnt vmcnt(4) lgkmcnt(4)                              // 0000000075B0: BF8C0474
	s_barrier                                                  // 0000000075B4: BF8A0000
	v_mfma_f32_16x16x16_bf16 v[148:151], a[24:25], v[52:53], 0 // 0000000075B8: D3E10094 0A026918
	v_mul_f32_e32 v140, s49, v140                              // 0000000075C0: 0B191831
	v_mul_f32_e32 v144, s49, v144                              // 0000000075C4: 0B212031
	s_nop 0                                                    // 0000000075C8: BF800000
	v_mfma_f32_16x16x16_bf16 v[148:151], a[28:29], v[54:55], v[148:151]// 0000000075CC: D3E10094 0E526D1C
	ds_read_b128 a[96:99], v16                                 // 0000000075D4: DBFE0000 60000010
	buffer_load_dword v36, v1, s[8:11], 0 idxen                // 0000000075DC: E0502000 80022401
	v_mfma_f32_16x16x16_bf16 v[148:151], a[32:33], v[56:57], v[148:151]// 0000000075E4: D3E10094 0E527120
	v_mfma_f32_16x16x16_bf16 v[148:151], a[36:37], v[58:59], v[148:151]// 0000000075EC: D3E10094 0E527524
	ds_read_b128 a[100:103], v16 offset:512                    // 0000000075F4: DBFE0200 64000010
	buffer_load_dword v37, v2, s[8:11], 0 idxen                // 0000000075FC: E0502000 80022502
	v_mfma_f32_16x16x16_bf16 v[148:151], a[40:41], v[60:61], v[148:151]// 000000007604: D3E10094 0E527928
	v_perm_b32 v100, v41, v40, s63                             // 00000000760C: D1ED0064 00FE5129
	v_perm_b32 v101, v41, v40, s64                             // 000000007614: D1ED0065 01025129
	v_mfma_f32_16x16x16_bf16 v[148:151], a[44:45], v[62:63], v[148:151]// 00000000761C: D3E10094 0E527D2C
	ds_read_b128 a[104:107], v16 offset:2176                   // 000000007624: DBFE0880 68000010
	buffer_load_dword v38, v3, s[8:11], 0 idxen                // 00000000762C: E0502000 80022603
	v_mfma_f32_16x16x16_bf16 v[148:151], a[48:49], v[64:65], v[148:151]// 000000007634: D3E10094 0E528130
	v_perm_b32 v102, v43, v42, s63                             // 00000000763C: D1ED0066 00FE552B
	v_perm_b32 v103, v43, v42, s64                             // 000000007644: D1ED0067 0102552B
	v_mfma_f32_16x16x16_bf16 v[148:151], a[52:53], v[66:67], v[148:151]// 00000000764C: D3E10094 0E528534
	ds_read_b128 a[108:111], v16 offset:2688                   // 000000007654: DBFE0A80 6C000010
	buffer_load_dword v39, v4, s[8:11], 0 idxen                // 00000000765C: E0502000 80022704
	v_mfma_f32_16x16x16_bf16 v[148:151], a[56:57], v[68:69], v[148:151]// 000000007664: D3E10094 0E528938
	v_perm_b32 v104, v49, v48, s63                             // 00000000766C: D1ED0068 00FE6131
	v_perm_b32 v105, v49, v48, s64                             // 000000007674: D1ED0069 01026131
	v_mfma_f32_16x16x16_bf16 v[148:151], a[60:61], v[70:71], v[148:151]// 00000000767C: D3E10094 0E528D3C
	ds_read_b128 v[108:111], v16 offset:8704                   // 000000007684: D9FE2200 6C000010
	buffer_load_dword v44, v1, s[20:23], 0 idxen               // 00000000768C: E0502000 80052C01
	v_mfma_f32_16x16x16_bf16 v[148:151], a[64:65], v[72:73], v[148:151]// 000000007694: D3E10094 0E529140
	v_perm_b32 v106, v51, v50, s63                             // 00000000769C: D1ED006A 00FE6533
	v_perm_b32 v107, v51, v50, s64                             // 0000000076A4: D1ED006B 01026533
	v_mfma_f32_16x16x16_bf16 v[148:151], a[68:69], v[74:75], v[148:151]// 0000000076AC: D3E10094 0E529544
	ds_read_b128 v[112:115], v16 offset:9216                   // 0000000076B4: D9FE2400 70000010
	buffer_load_dword v45, v2, s[20:23], 0 idxen               // 0000000076BC: E0502000 80052D02
	v_mfma_f32_16x16x16_bf16 v[152:155], a[26:27], v[52:53], 0 // 0000000076C4: D3E10098 0A02691A
	v_mov_b32_dpp v143, v140 quad_perm:[3,3,3,3] row_mask:0xf bank_mask:0xf// 0000000076CC: 7F1E02FA FF00FF8C
	v_mov_b32_dpp v142, v140 quad_perm:[2,2,2,2] row_mask:0xf bank_mask:0xf// 0000000076D4: 7F1C02FA FF00AA8C
	v_mov_b32_dpp v141, v140 quad_perm:[1,1,1,1] row_mask:0xf bank_mask:0xf// 0000000076DC: 7F1A02FA FF00558C
	v_mov_b32_dpp v140, v140 quad_perm:[0,0,0,0] row_mask:0xf bank_mask:0xf// 0000000076E4: 7F1802FA FF00008C
	v_mfma_f32_16x16x16_bf16 v[152:155], a[30:31], v[54:55], v[152:155]// 0000000076EC: D3E10098 0E626D1E
	ds_read_b128 v[116:119], v16 offset:10880                  // 0000000076F4: D9FE2A80 74000010
	buffer_load_dword v46, v3, s[20:23], 0 idxen               // 0000000076FC: E0502000 80052E03
	v_mfma_f32_16x16x16_bf16 v[152:155], a[34:35], v[56:57], v[152:155]// 000000007704: D3E10098 0E627122
	v_mov_b32_dpp v147, v144 quad_perm:[3,3,3,3] row_mask:0xf bank_mask:0xf// 00000000770C: 7F2602FA FF00FF90
	v_mov_b32_dpp v146, v144 quad_perm:[2,2,2,2] row_mask:0xf bank_mask:0xf// 000000007714: 7F2402FA FF00AA90
	v_mov_b32_dpp v145, v144 quad_perm:[1,1,1,1] row_mask:0xf bank_mask:0xf// 00000000771C: 7F2202FA FF005590
	v_mov_b32_dpp v144, v144 quad_perm:[0,0,0,0] row_mask:0xf bank_mask:0xf// 000000007724: 7F2002FA FF000090
	s_add_u32 s60, 0x80, s59                                   // 00000000772C: 803C3BFF 00000080
	v_mfma_f32_16x16x16_bf16 v[152:155], a[38:39], v[58:59], v[152:155]// 000000007734: D3E10098 0E627526
	ds_read_b128 v[120:123], v16 offset:11392                  // 00000000773C: D9FE2C80 78000010
	buffer_load_dword v47, v4, s[20:23], 0 idxen               // 000000007744: E0502000 80052F04
	v_mfma_f32_16x16x16_bf16 v[152:155], a[42:43], v[60:61], v[152:155]// 00000000774C: D3E10098 0E62792A
	s_cmp_lt_u32 s60, s58                                      // 000000007754: BF0A3A3C
	s_cselect_b32 s68, s68, 0                                  // 000000007758: 85448044
	s_cselect_b32 s69, s69, 0                                  // 00000000775C: 85458045
	v_mfma_f32_16x16x16_bf16 v[152:155], a[46:47], v[62:63], v[152:155]// 000000007760: D3E10098 0E627D2E
	buffer_load_dword v15, s[24:27], 0 idxen lds               // 000000007768: E0512000 8006000F
	v_mfma_f32_16x16x16_bf16 v[152:155], a[50:51], v[64:65], v[152:155]// 000000007770: D3E10098 0E628132
	s_add_u32 s8, s68, s8                                      // 000000007778: 80080844
	s_addc_u32 s9, 0, s9                                       // 00000000777C: 82090980
	v_mfma_f32_16x16x16_bf16 v[152:155], a[54:55], v[66:67], v[152:155]// 000000007780: D3E10098 0E628536
	s_add_u32 s20, s68, s20                                    // 000000007788: 80141444
	s_addc_u32 s21, 0, s21                                     // 00000000778C: 82151580
	v_mfma_f32_16x16x16_bf16 v[152:155], a[58:59], v[68:69], v[152:155]// 000000007790: D3E10098 0E62893A
	s_mov_b32 m0, s77                                          // 000000007798: BEFC004D
	v_add_u32_e32 v15, s69, v15                                // 00000000779C: 681E1E45
	v_mfma_f32_16x16x16_bf16 v[152:155], a[62:63], v[70:71], v[152:155]// 0000000077A0: D3E10098 0E628D3E
	s_cmp_ge_u32 s59, 32                                       // 0000000077A8: BF09A03B
	s_cselect_b32 s66, s67, s66                                // 0000000077AC: 85424243
	v_mfma_f32_16x16x16_bf16 v[152:155], a[66:67], v[72:73], v[152:155]// 0000000077B0: D3E10098 0E629142
	s_addk_i32 s59, 0x20                                       // 0000000077B8: B73B0020
	s_nop 0                                                    // 0000000077BC: BF800000
	s_cmp_lt_i32 s59, s58                                      // 0000000077C0: BF043A3B
	v_mfma_f32_16x16x16_bf16 v[152:155], a[70:71], v[74:75], v[152:155]// 0000000077C4: D3E10098 0E629546
	s_cbranch_scc0 label_0DF5                                  // 0000000077CC: BF840001
	s_branch label_0596                                        // 0000000077D0: BF82F7A1

00000000000077d4 <label_0DF5>:
	s_nop 0                                                    // 0000000077D4: BF800000
	s_nop 0                                                    // 0000000077D8: BF800000
	s_branch label_1657                                        // 0000000077DC: BF82085F

00000000000077e0 <label_0DF8>:
	s_waitcnt lgkmcnt(4)                                       // 0000000077E0: BF8CC47F
	s_barrier                                                  // 0000000077E4: BF8A0000
	v_mfma_f32_16x16x16_bf16 v[52:55], a[96:97], a[0:1], 0     // 0000000077E8: D3E10034 1A020160
	v_mul_f32_e32 v148, s48, v148                              // 0000000077F0: 0B292830
	v_mul_f32_e32 v149, s48, v149                              // 0000000077F4: 0B2B2A30
	v_mfma_f32_16x16x16_bf16 v[52:55], a[98:99], a[2:3], v[52:55]// 0000000077F8: D3E10034 1CD20562
	ds_write_b32 v17, v48 offset:8704                          // 000000007800: D81A2200 00003011
	ds_write_b32 v17, v49 offset:9760                          // 000000007808: D81A2620 00003111
	v_mfma_f32_16x16x16_bf16 v[52:55], a[100:101], a[4:5], v[52:55]// 000000007810: D3E10034 1CD20964
	v_mul_f32_e32 v150, s48, v150                              // 000000007818: 0B2D2C30
	v_mul_f32_e32 v151, s48, v151                              // 00000000781C: 0B2F2E30
	v_mfma_f32_16x16x16_bf16 v[52:55], a[102:103], a[6:7], v[52:55]// 000000007820: D3E10034 1CD20D66
	ds_write_b32 v17, v50 offset:10880                         // 000000007828: D81A2A80 00003211
	ds_write_b32 v17, v51 offset:11936                         // 000000007830: D81A2EA0 00003311
	v_mfma_f32_16x16x16_bf16 v[56:59], a[96:97], a[8:9], 0     // 000000007838: D3E10038 1A021160
	v_mul_f32_e32 v152, s48, v152                              // 000000007840: 0B313030
	v_mul_f32_e32 v153, s48, v153                              // 000000007844: 0B333230
	v_mfma_f32_16x16x16_bf16 v[56:59], a[98:99], a[10:11], v[56:59]// 000000007848: D3E10038 1CE21562
	v_mul_f32_e32 v154, s48, v154                              // 000000007850: 0B353430
	v_mul_f32_e32 v155, s48, v155                              // 000000007854: 0B373630
	v_mfma_f32_16x16x16_bf16 v[56:59], a[100:101], a[12:13], v[56:59]// 000000007858: D3E10038 1CE21964
	v_cmp_u_f32_e64 s[74:75], v148, v148                       // 000000007860: D048004A 00032994
	v_add3_u32 v226, v148, v229, 1                             // 000000007868: D1FF00E2 0207CB94
	v_cndmask_b32_e64 v32, v226, v228, s[74:75]                // 000000007870: D1000020 012BC9E2
	v_cmp_u_f32_e64 s[74:75], v149, v149                       // 000000007878: D048004A 00032B95
	v_add3_u32 v226, v149, v229, 1                             // 000000007880: D1FF00E2 0207CB95
	v_cndmask_b32_e64 v33, v226, v228, s[74:75]                // 000000007888: D1000021 012BC9E2
	v_perm_b32 v148, v33, v32, s64                             // 000000007890: D1ED0094 01024121
	v_cmp_u_f32_e64 s[74:75], v150, v150                       // 000000007898: D048004A 00032D96
	v_add3_u32 v226, v150, v229, 1                             // 0000000078A0: D1FF00E2 0207CB96
	v_cndmask_b32_e64 v32, v226, v228, s[74:75]                // 0000000078A8: D1000020 012BC9E2
	v_cmp_u_f32_e64 s[74:75], v151, v151                       // 0000000078B0: D048004A 00032F97
	v_add3_u32 v226, v151, v229, 1                             // 0000000078B8: D1FF00E2 0207CB97
	v_cndmask_b32_e64 v33, v226, v228, s[74:75]                // 0000000078C0: D1000021 012BC9E2
	v_perm_b32 v149, v33, v32, s64                             // 0000000078C8: D1ED0095 01024121
	v_mfma_f32_16x16x16_bf16 v[56:59], a[102:103], a[14:15], v[56:59]// 0000000078D0: D3E10038 1CE21D66
	v_cmp_u_f32_e64 s[74:75], v152, v152                       // 0000000078D8: D048004A 00033198
	v_add3_u32 v226, v152, v229, 1                             // 0000000078E0: D1FF00E2 0207CB98
	v_cndmask_b32_e64 v32, v226, v228, s[74:75]                // 0000000078E8: D1000020 012BC9E2
	v_cmp_u_f32_e64 s[74:75], v153, v153                       // 0000000078F0: D048004A 00033399
	v_add3_u32 v226, v153, v229, 1                             // 0000000078F8: D1FF00E2 0207CB99
	v_cndmask_b32_e64 v33, v226, v228, s[74:75]                // 000000007900: D1000021 012BC9E2
	v_perm_b32 v150, v33, v32, s64                             // 000000007908: D1ED0096 01024121
	v_cmp_u_f32_e64 s[74:75], v154, v154                       // 000000007910: D048004A 0003359A
	v_add3_u32 v226, v154, v229, 1                             // 000000007918: D1FF00E2 0207CB9A
	v_cndmask_b32_e64 v32, v226, v228, s[74:75]                // 000000007920: D1000020 012BC9E2
	v_cmp_u_f32_e64 s[74:75], v155, v155                       // 000000007928: D048004A 0003379B
	v_add3_u32 v226, v155, v229, 1                             // 000000007930: D1FF00E2 0207CB9B
	v_cndmask_b32_e64 v33, v226, v228, s[74:75]                // 000000007938: D1000021 012BC9E2
	v_perm_b32 v151, v33, v32, s64                             // 000000007940: D1ED0097 01024121
	v_mfma_f32_16x16x16_bf16 v[60:63], a[96:97], a[16:17], 0   // 000000007948: D3E1003C 1A022160
	v_mfma_f32_16x16x16_bf16 v[60:63], a[98:99], a[18:19], v[60:63]// 000000007950: D3E1003C 1CF22562
	ds_write_b64 v26, v[148:149] offset:31232                  // 000000007958: D89A7A00 0000941A
	v_mfma_f32_16x16x16_bf16 v[60:63], a[100:101], a[20:21], v[60:63]// 000000007960: D3E1003C 1CF22964
	v_mfma_f32_16x16x16_bf16 v[60:63], a[102:103], a[22:23], v[60:63]// 000000007968: D3E1003C 1CF22D66
	ds_write_b64 v26, v[150:151] offset:31776                  // 000000007970: D89A7C20 0000961A
	v_mfma_f32_16x16x16_bf16 v[64:67], a[104:105], a[0:1], 0   // 000000007978: D3E10040 1A020168
	v_mfma_f32_16x16x16_bf16 v[64:67], a[106:107], a[2:3], v[64:67]// 000000007980: D3E10040 1D02056A
	ds_read_b128 v[124:127], v18 offset:13056                  // 000000007988: D9FE3300 7C000012
	ds_write_b32 v17, v40                                      // 000000007990: D81A0000 00002811
	v_mfma_f32_16x16x16_bf16 v[64:67], a[108:109], a[4:5], v[64:67]// 000000007998: D3E10040 1D02096C
	v_mfma_f32_16x16x16_bf16 v[64:67], a[110:111], a[6:7], v[64:67]// 0000000079A0: D3E10040 1D020D6E
	v_mfma_f32_16x16x16_bf16 v[68:71], a[104:105], a[8:9], 0   // 0000000079A8: D3E10044 1A021168
	ds_read_b128 v[128:131], v18 offset:13568                  // 0000000079B0: D9FE3500 80000012
	ds_write_b32 v17, v41 offset:1056                          // 0000000079B8: D81A0420 00002911
	v_mfma_f32_16x16x16_bf16 v[68:71], a[106:107], a[10:11], v[68:71]// 0000000079C0: D3E10044 1D12156A
	v_mfma_f32_16x16x16_bf16 v[68:71], a[108:109], a[12:13], v[68:71]// 0000000079C8: D3E10044 1D12196C
	v_mfma_f32_16x16x16_bf16 v[68:71], a[110:111], a[14:15], v[68:71]// 0000000079D0: D3E10044 1D121D6E
	ds_read_b128 v[132:135], v18 offset:15232                  // 0000000079D8: D9FE3B80 84000012
	ds_write_b32 v17, v42 offset:2176                          // 0000000079E0: D81A0880 00002A11
	v_mfma_f32_16x16x16_bf16 v[72:75], a[104:105], a[16:17], 0 // 0000000079E8: D3E10048 1A022168
	v_mfma_f32_16x16x16_bf16 v[72:75], a[106:107], a[18:19], v[72:75]// 0000000079F0: D3E10048 1D22256A
	v_mfma_f32_16x16x16_bf16 v[72:75], a[108:109], a[20:21], v[72:75]// 0000000079F8: D3E10048 1D22296C
	ds_read_b128 v[136:139], v18 offset:15744                  // 000000007A00: D9FE3D80 88000012
	ds_write_b32 v17, v43 offset:3232                          // 000000007A08: D81A0CA0 00002B11
	v_mfma_f32_16x16x16_bf16 v[72:75], a[110:111], a[22:23], v[72:75]// 000000007A10: D3E10048 1D222D6E
	s_cmp_lt_i32 s73, 3                                        // 000000007A18: BF048349
	s_cbranch_scc0 label_0E9F                                  // 000000007A1C: BF840017
	s_cmp_eq_i32 s73, 1                                        // 000000007A20: BF008149
	s_cbranch_scc1 label_0E8D                                  // 000000007A24: BF850003
	s_cmp_eq_i32 s73, 2                                        // 000000007A28: BF008249
	s_cbranch_scc1 label_0E96                                  // 000000007A2C: BF85000A
	s_branch label_0E9F                                        // 000000007A30: BF820012

0000000000007a34 <label_0E8D>:
	v_mov_b32_e32 v56, v230                                    // 000000007A34: 7E7003E6
	v_mov_b32_e32 v68, v230                                    // 000000007A38: 7E8803E6
	v_mov_b32_e32 v57, v230                                    // 000000007A3C: 7E7203E6
	v_mov_b32_e32 v69, v230                                    // 000000007A40: 7E8A03E6
	v_mov_b32_e32 v58, v230                                    // 000000007A44: 7E7403E6
	v_mov_b32_e32 v70, v230                                    // 000000007A48: 7E8C03E6
	v_mov_b32_e32 v59, v230                                    // 000000007A4C: 7E7603E6
	v_mov_b32_e32 v71, v230                                    // 000000007A50: 7E8E03E6
	s_branch label_0E96                                        // 000000007A54: BF820000

0000000000007a58 <label_0E96>:
	v_mov_b32_e32 v60, v230                                    // 000000007A58: 7E7803E6
	v_mov_b32_e32 v72, v230                                    // 000000007A5C: 7E9003E6
	v_mov_b32_e32 v61, v230                                    // 000000007A60: 7E7A03E6
	v_mov_b32_e32 v73, v230                                    // 000000007A64: 7E9203E6
	v_mov_b32_e32 v62, v230                                    // 000000007A68: 7E7C03E6
	v_mov_b32_e32 v74, v230                                    // 000000007A6C: 7E9403E6
	v_mov_b32_e32 v63, v230                                    // 000000007A70: 7E7E03E6
	v_mov_b32_e32 v75, v230                                    // 000000007A74: 7E9603E6
	s_branch label_0E9F                                        // 000000007A78: BF820000

0000000000007a7c <label_0E9F>:
	s_waitcnt lgkmcnt(8)                                       // 000000007A7C: BF8CC87F
	s_barrier                                                  // 000000007A80: BF8A0000
	v_mfma_f32_16x16x16_bf16 v[76:79], v[108:109], a[72:73], 0 // 000000007A84: D3E1004C 1202916C
	v_fma_f32 v52, v52, s57, -v140                             // 000000007A8C: D1CB0034 86307334
	v_fma_f32 v53, v53, s57, -v141                             // 000000007A94: D1CB0035 86347335
	v_fma_f32 v54, v54, s57, -v142                             // 000000007A9C: D1CB0036 86387336
	v_fma_f32 v55, v55, s57, -v143                             // 000000007AA4: D1CB0037 863C7337
	v_fma_f32 v56, v56, s57, -v140                             // 000000007AAC: D1CB0038 86307338
	v_fma_f32 v57, v57, s57, -v141                             // 000000007AB4: D1CB0039 86347339
	v_mfma_f32_16x16x16_bf16 v[76:79], v[110:111], a[74:75], v[76:79]// 000000007ABC: D3E1004C 1532956E
	ds_read_b128 a[96:99], v18 offset:4352                     // 000000007AC4: DBFE1100 60000012
	ds_read_b128 a[100:103], v18 offset:4864                   // 000000007ACC: DBFE1300 64000012
	v_mfma_f32_16x16x16_bf16 v[76:79], v[112:113], a[76:77], v[76:79]// 000000007AD4: D3E1004C 15329970
	v_fma_f32 v58, v58, s57, -v142                             // 000000007ADC: D1CB003A 8638733A
	v_fma_f32 v59, v59, s57, -v143                             // 000000007AE4: D1CB003B 863C733B
	v_fma_f32 v60, v60, s57, -v140                             // 000000007AEC: D1CB003C 8630733C
	v_fma_f32 v61, v61, s57, -v141                             // 000000007AF4: D1CB003D 8634733D
	v_fma_f32 v62, v62, s57, -v142                             // 000000007AFC: D1CB003E 8638733E
	v_fma_f32 v63, v63, s57, -v143                             // 000000007B04: D1CB003F 863C733F
	v_mfma_f32_16x16x16_bf16 v[76:79], v[114:115], a[78:79], v[76:79]// 000000007B0C: D3E1004C 15329D72
	v_fma_f32 v64, v64, s57, -v144                             // 000000007B14: D1CB0040 86407340
	v_fma_f32 v65, v65, s57, -v145                             // 000000007B1C: D1CB0041 86447341
	v_fma_f32 v66, v66, s57, -v146                             // 000000007B24: D1CB0042 86487342
	v_fma_f32 v67, v67, s57, -v147                             // 000000007B2C: D1CB0043 864C7343
	v_fma_f32 v68, v68, s57, -v144                             // 000000007B34: D1CB0044 86407344
	v_fma_f32 v69, v69, s57, -v145                             // 000000007B3C: D1CB0045 86447345
	v_mfma_f32_16x16x16_bf16 v[80:83], v[108:109], a[80:81], 0 // 000000007B44: D3E10050 1202A16C
	v_fma_f32 v70, v70, s57, -v146                             // 000000007B4C: D1CB0046 86487346
	v_fma_f32 v71, v71, s57, -v147                             // 000000007B54: D1CB0047 864C7347
	v_fma_f32 v72, v72, s57, -v144                             // 000000007B5C: D1CB0048 86407348
	v_fma_f32 v73, v73, s57, -v145                             // 000000007B64: D1CB0049 86447349
	v_fma_f32 v74, v74, s57, -v146                             // 000000007B6C: D1CB004A 8648734A
	v_fma_f32 v75, v75, s57, -v147                             // 000000007B74: D1CB004B 864C734B
	v_mfma_f32_16x16x16_bf16 v[80:83], v[110:111], a[82:83], v[80:83]// 000000007B7C: D3E10050 1542A56E
	ds_read_b128 a[104:107], v18 offset:6528                   // 000000007B84: DBFE1980 68000012
	ds_read_b128 a[108:111], v18 offset:7040                   // 000000007B8C: DBFE1B80 6C000012
	v_mfma_f32_16x16x16_bf16 v[80:83], v[112:113], a[84:85], v[80:83]// 000000007B94: D3E10050 1542A970
	v_exp_f32_e32 v52, v52                                     // 000000007B9C: 7E684134
	v_exp_f32_e32 v53, v53                                     // 000000007BA0: 7E6A4135
	v_mfma_f32_16x16x16_bf16 v[80:83], v[114:115], a[86:87], v[80:83]// 000000007BA4: D3E10050 1542AD72
	v_exp_f32_e32 v54, v54                                     // 000000007BAC: 7E6C4136
	v_exp_f32_e32 v55, v55                                     // 000000007BB0: 7E6E4137
	v_mfma_f32_16x16x16_bf16 v[84:87], v[108:109], a[88:89], 0 // 000000007BB4: D3E10054 1202B16C
	v_exp_f32_e32 v56, v56                                     // 000000007BBC: 7E704138
	v_exp_f32_e32 v57, v57                                     // 000000007BC0: 7E724139
	v_mfma_f32_16x16x16_bf16 v[84:87], v[110:111], a[90:91], v[84:87]// 000000007BC4: D3E10054 1552B56E
	ds_read_b32 v156, v25 offset:31232                         // 000000007BCC: D86C7A00 9C000019
	ds_read_b32 v157, v25 offset:31248                         // 000000007BD4: D86C7A10 9D000019
	v_mfma_f32_16x16x16_bf16 v[84:87], v[112:113], a[92:93], v[84:87]// 000000007BDC: D3E10054 1552B970
	v_exp_f32_e32 v58, v58                                     // 000000007BE4: 7E74413A
	v_exp_f32_e32 v59, v59                                     // 000000007BE8: 7E76413B
	v_mfma_f32_16x16x16_bf16 v[84:87], v[114:115], a[94:95], v[84:87]// 000000007BEC: D3E10054 1552BD72
	ds_read_b32 v158, v25 offset:31264                         // 000000007BF4: D86C7A20 9E000019
	ds_read_b32 v159, v25 offset:31280                         // 000000007BFC: D86C7A30 9F000019
	v_mfma_f32_16x16x16_bf16 v[88:91], v[116:117], a[72:73], 0 // 000000007C04: D3E10058 12029174
	v_exp_f32_e32 v60, v60                                     // 000000007C0C: 7E78413C
	v_exp_f32_e32 v61, v61                                     // 000000007C10: 7E7A413D
	v_mfma_f32_16x16x16_bf16 v[88:91], v[118:119], a[74:75], v[88:91]// 000000007C14: D3E10058 15629576
	v_exp_f32_e32 v62, v62                                     // 000000007C1C: 7E7C413E
	v_exp_f32_e32 v63, v63                                     // 000000007C20: 7E7E413F
	v_mfma_f32_16x16x16_bf16 v[88:91], v[120:121], a[76:77], v[88:91]// 000000007C24: D3E10058 15629978
	v_exp_f32_e32 v64, v64                                     // 000000007C2C: 7E804140
	v_exp_f32_e32 v65, v65                                     // 000000007C30: 7E824141
	v_mfma_f32_16x16x16_bf16 v[88:91], v[122:123], a[78:79], v[88:91]// 000000007C34: D3E10058 15629D7A
	v_exp_f32_e32 v66, v66                                     // 000000007C3C: 7E844142
	v_exp_f32_e32 v67, v67                                     // 000000007C40: 7E864143
	v_mfma_f32_16x16x16_bf16 v[92:95], v[116:117], a[80:81], 0 // 000000007C44: D3E1005C 1202A174
	v_exp_f32_e32 v68, v68                                     // 000000007C4C: 7E884144
	v_exp_f32_e32 v69, v69                                     // 000000007C50: 7E8A4145
	v_mfma_f32_16x16x16_bf16 v[92:95], v[118:119], a[82:83], v[92:95]// 000000007C54: D3E1005C 1572A576
	v_exp_f32_e32 v70, v70                                     // 000000007C5C: 7E8C4146
	v_exp_f32_e32 v71, v71                                     // 000000007C60: 7E8E4147
	v_mfma_f32_16x16x16_bf16 v[92:95], v[120:121], a[84:85], v[92:95]// 000000007C64: D3E1005C 1572A978
	v_exp_f32_e32 v72, v72                                     // 000000007C6C: 7E904148
	v_exp_f32_e32 v73, v73                                     // 000000007C70: 7E924149
	v_mfma_f32_16x16x16_bf16 v[92:95], v[122:123], a[86:87], v[92:95]// 000000007C74: D3E1005C 1572AD7A
	v_exp_f32_e32 v74, v74                                     // 000000007C7C: 7E94414A
	v_exp_f32_e32 v75, v75                                     // 000000007C80: 7E96414B
	v_mfma_f32_16x16x16_bf16 v[96:99], v[116:117], a[88:89], 0 // 000000007C84: D3E10060 1202B174
	v_cmp_u_f32_e64 s[74:75], v52, v52                         // 000000007C8C: D048004A 00026934
	v_add3_u32 v226, v52, v229, 1                              // 000000007C94: D1FF00E2 0207CB34
	v_cndmask_b32_e64 v32, v226, v228, s[74:75]                // 000000007C9C: D1000020 012BC9E2
	v_cmp_u_f32_e64 s[74:75], v53, v53                         // 000000007CA4: D048004A 00026B35
	v_add3_u32 v226, v53, v229, 1                              // 000000007CAC: D1FF00E2 0207CB35
	v_cndmask_b32_e64 v33, v226, v228, s[74:75]                // 000000007CB4: D1000021 012BC9E2
	v_perm_b32 v164, v33, v32, s64                             // 000000007CBC: D1ED00A4 01024121
	v_cmp_u_f32_e64 s[74:75], v54, v54                         // 000000007CC4: D048004A 00026D36
	v_add3_u32 v226, v54, v229, 1                              // 000000007CCC: D1FF00E2 0207CB36
	v_cndmask_b32_e64 v32, v226, v228, s[74:75]                // 000000007CD4: D1000020 012BC9E2
	v_cmp_u_f32_e64 s[74:75], v55, v55                         // 000000007CDC: D048004A 00026F37
	v_add3_u32 v226, v55, v229, 1                              // 000000007CE4: D1FF00E2 0207CB37
	v_cndmask_b32_e64 v33, v226, v228, s[74:75]                // 000000007CEC: D1000021 012BC9E2
	v_perm_b32 v165, v33, v32, s64                             // 000000007CF4: D1ED00A5 01024121
	v_cmp_u_f32_e64 s[74:75], v56, v56                         // 000000007CFC: D048004A 00027138
	v_add3_u32 v226, v56, v229, 1                              // 000000007D04: D1FF00E2 0207CB38
	v_cndmask_b32_e64 v32, v226, v228, s[74:75]                // 000000007D0C: D1000020 012BC9E2
	v_cmp_u_f32_e64 s[74:75], v57, v57                         // 000000007D14: D048004A 00027339
	v_add3_u32 v226, v57, v229, 1                              // 000000007D1C: D1FF00E2 0207CB39
	v_cndmask_b32_e64 v33, v226, v228, s[74:75]                // 000000007D24: D1000021 012BC9E2
	v_perm_b32 v166, v33, v32, s64                             // 000000007D2C: D1ED00A6 01024121
	v_cmp_u_f32_e64 s[74:75], v58, v58                         // 000000007D34: D048004A 0002753A
	v_add3_u32 v226, v58, v229, 1                              // 000000007D3C: D1FF00E2 0207CB3A
	v_cndmask_b32_e64 v32, v226, v228, s[74:75]                // 000000007D44: D1000020 012BC9E2
	v_cmp_u_f32_e64 s[74:75], v59, v59                         // 000000007D4C: D048004A 0002773B
	v_add3_u32 v226, v59, v229, 1                              // 000000007D54: D1FF00E2 0207CB3B
	v_cndmask_b32_e64 v33, v226, v228, s[74:75]                // 000000007D5C: D1000021 012BC9E2
	v_perm_b32 v167, v33, v32, s64                             // 000000007D64: D1ED00A7 01024121
	v_cmp_u_f32_e64 s[74:75], v60, v60                         // 000000007D6C: D048004A 0002793C
	v_add3_u32 v226, v60, v229, 1                              // 000000007D74: D1FF00E2 0207CB3C
	v_cndmask_b32_e64 v32, v226, v228, s[74:75]                // 000000007D7C: D1000020 012BC9E2
	v_cmp_u_f32_e64 s[74:75], v61, v61                         // 000000007D84: D048004A 00027B3D
	v_add3_u32 v226, v61, v229, 1                              // 000000007D8C: D1FF00E2 0207CB3D
	v_cndmask_b32_e64 v33, v226, v228, s[74:75]                // 000000007D94: D1000021 012BC9E2
	v_perm_b32 v168, v33, v32, s64                             // 000000007D9C: D1ED00A8 01024121
	v_cmp_u_f32_e64 s[74:75], v62, v62                         // 000000007DA4: D048004A 00027D3E
	v_add3_u32 v226, v62, v229, 1                              // 000000007DAC: D1FF00E2 0207CB3E
	v_cndmask_b32_e64 v32, v226, v228, s[74:75]                // 000000007DB4: D1000020 012BC9E2
	v_cmp_u_f32_e64 s[74:75], v63, v63                         // 000000007DBC: D048004A 00027F3F
	v_add3_u32 v226, v63, v229, 1                              // 000000007DC4: D1FF00E2 0207CB3F
	v_cndmask_b32_e64 v33, v226, v228, s[74:75]                // 000000007DCC: D1000021 012BC9E2
	v_perm_b32 v169, v33, v32, s64                             // 000000007DD4: D1ED00A9 01024121
	v_mfma_f32_16x16x16_bf16 v[96:99], v[118:119], a[90:91], v[96:99]// 000000007DDC: D3E10060 1582B576
	v_cmp_u_f32_e64 s[74:75], v64, v64                         // 000000007DE4: D048004A 00028140
	v_add3_u32 v226, v64, v229, 1                              // 000000007DEC: D1FF00E2 0207CB40
	v_cndmask_b32_e64 v32, v226, v228, s[74:75]                // 000000007DF4: D1000020 012BC9E2
	v_cmp_u_f32_e64 s[74:75], v65, v65                         // 000000007DFC: D048004A 00028341
	v_add3_u32 v226, v65, v229, 1                              // 000000007E04: D1FF00E2 0207CB41
	v_cndmask_b32_e64 v33, v226, v228, s[74:75]                // 000000007E0C: D1000021 012BC9E2
	v_perm_b32 v170, v33, v32, s64                             // 000000007E14: D1ED00AA 01024121
	v_cmp_u_f32_e64 s[74:75], v66, v66                         // 000000007E1C: D048004A 00028542
	v_add3_u32 v226, v66, v229, 1                              // 000000007E24: D1FF00E2 0207CB42
	v_cndmask_b32_e64 v32, v226, v228, s[74:75]                // 000000007E2C: D1000020 012BC9E2
	v_cmp_u_f32_e64 s[74:75], v67, v67                         // 000000007E34: D048004A 00028743
	v_add3_u32 v226, v67, v229, 1                              // 000000007E3C: D1FF00E2 0207CB43
	v_cndmask_b32_e64 v33, v226, v228, s[74:75]                // 000000007E44: D1000021 012BC9E2
	v_perm_b32 v171, v33, v32, s64                             // 000000007E4C: D1ED00AB 01024121
	v_cmp_u_f32_e64 s[74:75], v68, v68                         // 000000007E54: D048004A 00028944
	v_add3_u32 v226, v68, v229, 1                              // 000000007E5C: D1FF00E2 0207CB44
	v_cndmask_b32_e64 v32, v226, v228, s[74:75]                // 000000007E64: D1000020 012BC9E2
	v_cmp_u_f32_e64 s[74:75], v69, v69                         // 000000007E6C: D048004A 00028B45
	v_add3_u32 v226, v69, v229, 1                              // 000000007E74: D1FF00E2 0207CB45
	v_cndmask_b32_e64 v33, v226, v228, s[74:75]                // 000000007E7C: D1000021 012BC9E2
	v_perm_b32 v172, v33, v32, s64                             // 000000007E84: D1ED00AC 01024121
	v_cmp_u_f32_e64 s[74:75], v70, v70                         // 000000007E8C: D048004A 00028D46
	v_add3_u32 v226, v70, v229, 1                              // 000000007E94: D1FF00E2 0207CB46
	v_cndmask_b32_e64 v32, v226, v228, s[74:75]                // 000000007E9C: D1000020 012BC9E2
	v_cmp_u_f32_e64 s[74:75], v71, v71                         // 000000007EA4: D048004A 00028F47
	v_add3_u32 v226, v71, v229, 1                              // 000000007EAC: D1FF00E2 0207CB47
	v_cndmask_b32_e64 v33, v226, v228, s[74:75]                // 000000007EB4: D1000021 012BC9E2
	v_perm_b32 v173, v33, v32, s64                             // 000000007EBC: D1ED00AD 01024121
	v_cmp_u_f32_e64 s[74:75], v72, v72                         // 000000007EC4: D048004A 00029148
	v_add3_u32 v226, v72, v229, 1                              // 000000007ECC: D1FF00E2 0207CB48
	v_cndmask_b32_e64 v32, v226, v228, s[74:75]                // 000000007ED4: D1000020 012BC9E2
	v_cmp_u_f32_e64 s[74:75], v73, v73                         // 000000007EDC: D048004A 00029349
	v_add3_u32 v226, v73, v229, 1                              // 000000007EE4: D1FF00E2 0207CB49
	v_cndmask_b32_e64 v33, v226, v228, s[74:75]                // 000000007EEC: D1000021 012BC9E2
	v_perm_b32 v174, v33, v32, s64                             // 000000007EF4: D1ED00AE 01024121
	v_cmp_u_f32_e64 s[74:75], v74, v74                         // 000000007EFC: D048004A 0002954A
	v_add3_u32 v226, v74, v229, 1                              // 000000007F04: D1FF00E2 0207CB4A
	v_cndmask_b32_e64 v32, v226, v228, s[74:75]                // 000000007F0C: D1000020 012BC9E2
	v_cmp_u_f32_e64 s[74:75], v75, v75                         // 000000007F14: D048004A 0002974B
	v_add3_u32 v226, v75, v229, 1                              // 000000007F1C: D1FF00E2 0207CB4B
	v_cndmask_b32_e64 v33, v226, v228, s[74:75]                // 000000007F24: D1000021 012BC9E2
	v_perm_b32 v175, v33, v32, s64                             // 000000007F2C: D1ED00AF 01024121
	v_mfma_f32_16x16x16_bf16 v[96:99], v[120:121], a[92:93], v[96:99]// 000000007F34: D3E10060 1582B978
	s_add_u32 s32, s66, s32                                    // 000000007F3C: 80202042
	s_addc_u32 s33, 0, s33                                     // 000000007F40: 82212180
	v_mfma_f32_16x16x16_bf16 v[96:99], v[122:123], a[94:95], v[96:99]// 000000007F44: D3E10060 1582BD7A
	s_waitcnt lgkmcnt(0)                                       // 000000007F4C: BF8CC07F
	s_barrier                                                  // 000000007F50: BF8A0000
	v_mfma_f32_16x16x16_bf16 v[178:181], v[124:125], v[164:165], v[178:181]// 000000007F54: D3E100B2 06CB497C
	v_subrev_f32_dpp v76, v176, v76 quad_perm:[0,0,0,0] row_mask:0xf bank_mask:0xf// 000000007F5C: 069898FA FF0000B0
	v_subrev_f32_dpp v77, v176, v77 quad_perm:[1,1,1,1] row_mask:0xf bank_mask:0xf// 000000007F64: 069A9AFA FF0055B0
	v_subrev_f32_dpp v78, v176, v78 quad_perm:[2,2,2,2] row_mask:0xf bank_mask:0xf// 000000007F6C: 069C9CFA FF00AAB0
	v_subrev_f32_dpp v79, v176, v79 quad_perm:[3,3,3,3] row_mask:0xf bank_mask:0xf// 000000007F74: 069E9EFA FF00FFB0
	v_subrev_f32_dpp v80, v176, v80 quad_perm:[0,0,0,0] row_mask:0xf bank_mask:0xf// 000000007F7C: 06A0A0FA FF0000B0
	v_subrev_f32_dpp v81, v176, v81 quad_perm:[1,1,1,1] row_mask:0xf bank_mask:0xf// 000000007F84: 06A2A2FA FF0055B0
	v_mfma_f32_16x16x16_bf16 v[182:185], v[126:127], v[164:165], v[182:185]// 000000007F8C: D3E100B6 06DB497E
	v_subrev_f32_dpp v82, v176, v82 quad_perm:[2,2,2,2] row_mask:0xf bank_mask:0xf// 000000007F94: 06A4A4FA FF00AAB0
	v_subrev_f32_dpp v83, v176, v83 quad_perm:[3,3,3,3] row_mask:0xf bank_mask:0xf// 000000007F9C: 06A6A6FA FF00FFB0
	v_subrev_f32_dpp v84, v176, v84 quad_perm:[0,0,0,0] row_mask:0xf bank_mask:0xf// 000000007FA4: 06A8A8FA FF0000B0
	v_subrev_f32_dpp v85, v176, v85 quad_perm:[1,1,1,1] row_mask:0xf bank_mask:0xf// 000000007FAC: 06AAAAFA FF0055B0
	v_subrev_f32_dpp v86, v176, v86 quad_perm:[2,2,2,2] row_mask:0xf bank_mask:0xf// 000000007FB4: 06ACACFA FF00AAB0
	v_subrev_f32_dpp v87, v176, v87 quad_perm:[3,3,3,3] row_mask:0xf bank_mask:0xf// 000000007FBC: 06AEAEFA FF00FFB0
	v_mfma_f32_16x16x16_bf16 v[186:189], v[128:129], v[164:165], v[186:189]// 000000007FC4: D3E100BA 06EB4980
	v_mul_f32_e32 v76, v52, v76                                // 000000007FCC: 0A989934
	v_mul_f32_e32 v77, v53, v77                                // 000000007FD0: 0A9A9B35
	v_mul_f32_e32 v78, v54, v78                                // 000000007FD4: 0A9C9D36
	v_mul_f32_e32 v79, v55, v79                                // 000000007FD8: 0A9E9F37
	v_mul_f32_e32 v80, v56, v80                                // 000000007FDC: 0AA0A138
	v_mul_f32_e32 v81, v57, v81                                // 000000007FE0: 0AA2A339
	v_mfma_f32_16x16x16_bf16 v[190:193], v[130:131], v[164:165], v[190:193]// 000000007FE4: D3E100BE 06FB4982
	v_mul_f32_e32 v82, v58, v82                                // 000000007FEC: 0AA4A53A
	v_mul_f32_e32 v83, v59, v83                                // 000000007FF0: 0AA6A73B
	v_mul_f32_e32 v84, v60, v84                                // 000000007FF4: 0AA8A93C
	v_mul_f32_e32 v85, v61, v85                                // 000000007FF8: 0AAAAB3D
	v_mul_f32_e32 v86, v62, v86                                // 000000007FFC: 0AACAD3E
	v_mul_f32_e32 v87, v63, v87                                // 000000008000: 0AAEAF3F
	v_mfma_f32_16x16x16_bf16 v[194:197], v[124:125], v[166:167], v[194:197]// 000000008004: D3E100C2 070B4D7C
	v_cmp_u_f32_e64 s[74:75], v76, v76                         // 00000000800C: D048004A 0002994C
	v_add3_u32 v226, v76, v229, 1                              // 000000008014: D1FF00E2 0207CB4C
	v_cndmask_b32_e64 v32, v226, v228, s[74:75]                // 00000000801C: D1000020 012BC9E2
	v_cmp_u_f32_e64 s[74:75], v77, v77                         // 000000008024: D048004A 00029B4D
	v_add3_u32 v226, v77, v229, 1                              // 00000000802C: D1FF00E2 0207CB4D
	v_cndmask_b32_e64 v33, v226, v228, s[74:75]                // 000000008034: D1000021 012BC9E2
	v_perm_b32 v76, v33, v32, s64                              // 00000000803C: D1ED004C 01024121
	v_cmp_u_f32_e64 s[74:75], v78, v78                         // 000000008044: D048004A 00029D4E
	v_add3_u32 v226, v78, v229, 1                              // 00000000804C: D1FF00E2 0207CB4E
	v_cndmask_b32_e64 v32, v226, v228, s[74:75]                // 000000008054: D1000020 012BC9E2
	v_cmp_u_f32_e64 s[74:75], v79, v79                         // 00000000805C: D048004A 00029F4F
	v_add3_u32 v226, v79, v229, 1                              // 000000008064: D1FF00E2 0207CB4F
	v_cndmask_b32_e64 v33, v226, v228, s[74:75]                // 00000000806C: D1000021 012BC9E2
	v_perm_b32 v77, v33, v32, s64                              // 000000008074: D1ED004D 01024121
	v_cmp_u_f32_e64 s[74:75], v80, v80                         // 00000000807C: D048004A 0002A150
	v_add3_u32 v226, v80, v229, 1                              // 000000008084: D1FF00E2 0207CB50
	v_cndmask_b32_e64 v32, v226, v228, s[74:75]                // 00000000808C: D1000020 012BC9E2
	v_cmp_u_f32_e64 s[74:75], v81, v81                         // 000000008094: D048004A 0002A351
	v_add3_u32 v226, v81, v229, 1                              // 00000000809C: D1FF00E2 0207CB51
	v_cndmask_b32_e64 v33, v226, v228, s[74:75]                // 0000000080A4: D1000021 012BC9E2
	v_perm_b32 v78, v33, v32, s64                              // 0000000080AC: D1ED004E 01024121
	v_cmp_u_f32_e64 s[74:75], v82, v82                         // 0000000080B4: D048004A 0002A552
	v_add3_u32 v226, v82, v229, 1                              // 0000000080BC: D1FF00E2 0207CB52
	v_cndmask_b32_e64 v32, v226, v228, s[74:75]                // 0000000080C4: D1000020 012BC9E2
	v_cmp_u_f32_e64 s[74:75], v83, v83                         // 0000000080CC: D048004A 0002A753
	v_add3_u32 v226, v83, v229, 1                              // 0000000080D4: D1FF00E2 0207CB53
	v_cndmask_b32_e64 v33, v226, v228, s[74:75]                // 0000000080DC: D1000021 012BC9E2
	v_perm_b32 v79, v33, v32, s64                              // 0000000080E4: D1ED004F 01024121
	v_cmp_u_f32_e64 s[74:75], v84, v84                         // 0000000080EC: D048004A 0002A954
	v_add3_u32 v226, v84, v229, 1                              // 0000000080F4: D1FF00E2 0207CB54
	v_cndmask_b32_e64 v32, v226, v228, s[74:75]                // 0000000080FC: D1000020 012BC9E2
	v_cmp_u_f32_e64 s[74:75], v85, v85                         // 000000008104: D048004A 0002AB55
	v_add3_u32 v226, v85, v229, 1                              // 00000000810C: D1FF00E2 0207CB55
	v_cndmask_b32_e64 v33, v226, v228, s[74:75]                // 000000008114: D1000021 012BC9E2
	v_perm_b32 v80, v33, v32, s64                              // 00000000811C: D1ED0050 01024121
	v_cmp_u_f32_e64 s[74:75], v86, v86                         // 000000008124: D048004A 0002AD56
	v_add3_u32 v226, v86, v229, 1                              // 00000000812C: D1FF00E2 0207CB56
	v_cndmask_b32_e64 v32, v226, v228, s[74:75]                // 000000008134: D1000020 012BC9E2
	v_cmp_u_f32_e64 s[74:75], v87, v87                         // 00000000813C: D048004A 0002AF57
	v_add3_u32 v226, v87, v229, 1                              // 000000008144: D1FF00E2 0207CB57
	v_cndmask_b32_e64 v33, v226, v228, s[74:75]                // 00000000814C: D1000021 012BC9E2
	v_perm_b32 v81, v33, v32, s64                              // 000000008154: D1ED0051 01024121
	v_mfma_f32_16x16x16_bf16 v[198:201], v[126:127], v[166:167], v[198:201]// 00000000815C: D3E100C6 071B4D7E
	v_mov_b32_dpp v22, v76 quad_perm:[1,0,3,2] row_mask:0xf bank_mask:0xf// 000000008164: 7E2C02FA FF00B14C
	v_perm_b32 v52, v22, v76, v21                              // 00000000816C: D1ED0034 04569916
	v_mov_b32_dpp v22, v77 quad_perm:[1,0,3,2] row_mask:0xf bank_mask:0xf// 000000008174: 7E2C02FA FF00B14D
	v_perm_b32 v53, v22, v77, v21                              // 00000000817C: D1ED0035 04569B16
	v_mov_b32_dpp v22, v78 quad_perm:[1,0,3,2] row_mask:0xf bank_mask:0xf// 000000008184: 7E2C02FA FF00B14E
	v_perm_b32 v54, v22, v78, v21                              // 00000000818C: D1ED0036 04569D16
	v_mfma_f32_16x16x16_bf16 v[202:205], v[128:129], v[166:167], v[202:205]// 000000008194: D3E100CA 072B4D80
	ds_write_b32 v24, v52 offset:17408                         // 00000000819C: D81A4400 00003418
	ds_write_b32 v24, v53 offset:17952                         // 0000000081A4: D81A4620 00003518
	v_mfma_f32_16x16x16_bf16 v[206:209], v[130:131], v[166:167], v[206:209]// 0000000081AC: D3E100CE 073B4D82
	v_mov_b32_dpp v22, v79 quad_perm:[1,0,3,2] row_mask:0xf bank_mask:0xf// 0000000081B4: 7E2C02FA FF00B14F
	v_perm_b32 v55, v22, v79, v21                              // 0000000081BC: D1ED0037 04569F16
	v_mov_b32_dpp v22, v80 quad_perm:[1,0,3,2] row_mask:0xf bank_mask:0xf// 0000000081C4: 7E2C02FA FF00B150
	v_perm_b32 v56, v22, v80, v21                              // 0000000081CC: D1ED0038 0456A116
	v_mov_b32_dpp v22, v81 quad_perm:[1,0,3,2] row_mask:0xf bank_mask:0xf// 0000000081D4: 7E2C02FA FF00B151
	v_perm_b32 v57, v22, v81, v21                              // 0000000081DC: D1ED0039 0456A316
	v_mfma_f32_16x16x16_bf16 v[210:213], v[124:125], v[168:169], v[210:213]// 0000000081E4: D3E100D2 074B517C
	ds_write_b32 v24, v54 offset:19712                         // 0000000081EC: D81A4D00 00003618
	ds_write_b32 v24, v55 offset:20256                         // 0000000081F4: D81A4F20 00003718
	v_mfma_f32_16x16x16_bf16 v[214:217], v[126:127], v[168:169], v[214:217]// 0000000081FC: D3E100D6 075B517E
	v_subrev_f32_dpp v88, v177, v88 quad_perm:[0,0,0,0] row_mask:0xf bank_mask:0xf// 000000008204: 06B0B0FA FF0000B1
	v_subrev_f32_dpp v89, v177, v89 quad_perm:[1,1,1,1] row_mask:0xf bank_mask:0xf// 00000000820C: 06B2B2FA FF0055B1
	v_subrev_f32_dpp v90, v177, v90 quad_perm:[2,2,2,2] row_mask:0xf bank_mask:0xf// 000000008214: 06B4B4FA FF00AAB1
	v_subrev_f32_dpp v91, v177, v91 quad_perm:[3,3,3,3] row_mask:0xf bank_mask:0xf// 00000000821C: 06B6B6FA FF00FFB1
	v_subrev_f32_dpp v92, v177, v92 quad_perm:[0,0,0,0] row_mask:0xf bank_mask:0xf// 000000008224: 06B8B8FA FF0000B1
	v_subrev_f32_dpp v93, v177, v93 quad_perm:[1,1,1,1] row_mask:0xf bank_mask:0xf// 00000000822C: 06BABAFA FF0055B1
	v_mfma_f32_16x16x16_bf16 v[218:221], v[128:129], v[168:169], v[218:221]// 000000008234: D3E100DA 076B5180
	ds_write_b32 v24, v56 offset:22016                         // 00000000823C: D81A5600 00003818
	ds_write_b32 v24, v57 offset:22560                         // 000000008244: D81A5820 00003918
	v_mfma_f32_16x16x16_bf16 v[222:225], v[130:131], v[168:169], v[222:225]// 00000000824C: D3E100DE 077B5182
	v_subrev_f32_dpp v94, v177, v94 quad_perm:[2,2,2,2] row_mask:0xf bank_mask:0xf// 000000008254: 06BCBCFA FF00AAB1
	v_subrev_f32_dpp v95, v177, v95 quad_perm:[3,3,3,3] row_mask:0xf bank_mask:0xf// 00000000825C: 06BEBEFA FF00FFB1
	v_subrev_f32_dpp v96, v177, v96 quad_perm:[0,0,0,0] row_mask:0xf bank_mask:0xf// 000000008264: 06C0C0FA FF0000B1
	v_subrev_f32_dpp v97, v177, v97 quad_perm:[1,1,1,1] row_mask:0xf bank_mask:0xf// 00000000826C: 06C2C2FA FF0055B1
	v_subrev_f32_dpp v98, v177, v98 quad_perm:[2,2,2,2] row_mask:0xf bank_mask:0xf// 000000008274: 06C4C4FA FF00AAB1
	v_subrev_f32_dpp v99, v177, v99 quad_perm:[3,3,3,3] row_mask:0xf bank_mask:0xf// 00000000827C: 06C6C6FA FF00FFB1
	v_mfma_f32_16x16x16_bf16 v[178:181], v[132:133], v[170:171], v[178:181]// 000000008284: D3E100B2 06CB5584
	v_mul_f32_e32 v88, v64, v88                                // 00000000828C: 0AB0B140
	v_mul_f32_e32 v89, v65, v89                                // 000000008290: 0AB2B341
	v_mul_f32_e32 v90, v66, v90                                // 000000008294: 0AB4B542
	v_mul_f32_e32 v91, v67, v91                                // 000000008298: 0AB6B743
	v_mul_f32_e32 v92, v68, v92                                // 00000000829C: 0AB8B944
	v_mul_f32_e32 v93, v69, v93                                // 0000000082A0: 0ABABB45
	v_mfma_f32_16x16x16_bf16 v[182:185], v[134:135], v[170:171], v[182:185]// 0000000082A4: D3E100B6 06DB5586
	v_mul_f32_e32 v94, v70, v94                                // 0000000082AC: 0ABCBD46
	v_mul_f32_e32 v95, v71, v95                                // 0000000082B0: 0ABEBF47
	v_mul_f32_e32 v96, v72, v96                                // 0000000082B4: 0AC0C148
	v_mul_f32_e32 v97, v73, v97                                // 0000000082B8: 0AC2C349
	v_mul_f32_e32 v98, v74, v98                                // 0000000082BC: 0AC4C54A
	v_mul_f32_e32 v99, v75, v99                                // 0000000082C0: 0AC6C74B
	v_mfma_f32_16x16x16_bf16 v[186:189], v[136:137], v[170:171], v[186:189]// 0000000082C4: D3E100BA 06EB5588
	v_cmp_u_f32_e64 s[74:75], v88, v88                         // 0000000082CC: D048004A 0002B158
	v_add3_u32 v226, v88, v229, 1                              // 0000000082D4: D1FF00E2 0207CB58
	v_cndmask_b32_e64 v32, v226, v228, s[74:75]                // 0000000082DC: D1000020 012BC9E2
	v_cmp_u_f32_e64 s[74:75], v89, v89                         // 0000000082E4: D048004A 0002B359
	v_add3_u32 v226, v89, v229, 1                              // 0000000082EC: D1FF00E2 0207CB59
	v_cndmask_b32_e64 v33, v226, v228, s[74:75]                // 0000000082F4: D1000021 012BC9E2
	v_perm_b32 v82, v33, v32, s64                              // 0000000082FC: D1ED0052 01024121
	v_cmp_u_f32_e64 s[74:75], v90, v90                         // 000000008304: D048004A 0002B55A
	v_add3_u32 v226, v90, v229, 1                              // 00000000830C: D1FF00E2 0207CB5A
	v_cndmask_b32_e64 v32, v226, v228, s[74:75]                // 000000008314: D1000020 012BC9E2
	v_cmp_u_f32_e64 s[74:75], v91, v91                         // 00000000831C: D048004A 0002B75B
	v_add3_u32 v226, v91, v229, 1                              // 000000008324: D1FF00E2 0207CB5B
	v_cndmask_b32_e64 v33, v226, v228, s[74:75]                // 00000000832C: D1000021 012BC9E2
	v_perm_b32 v83, v33, v32, s64                              // 000000008334: D1ED0053 01024121
	v_cmp_u_f32_e64 s[74:75], v92, v92                         // 00000000833C: D048004A 0002B95C
	v_add3_u32 v226, v92, v229, 1                              // 000000008344: D1FF00E2 0207CB5C
	v_cndmask_b32_e64 v32, v226, v228, s[74:75]                // 00000000834C: D1000020 012BC9E2
	v_cmp_u_f32_e64 s[74:75], v93, v93                         // 000000008354: D048004A 0002BB5D
	v_add3_u32 v226, v93, v229, 1                              // 00000000835C: D1FF00E2 0207CB5D
	v_cndmask_b32_e64 v33, v226, v228, s[74:75]                // 000000008364: D1000021 012BC9E2
	v_perm_b32 v84, v33, v32, s64                              // 00000000836C: D1ED0054 01024121
	v_cmp_u_f32_e64 s[74:75], v94, v94                         // 000000008374: D048004A 0002BD5E
	v_add3_u32 v226, v94, v229, 1                              // 00000000837C: D1FF00E2 0207CB5E
	v_cndmask_b32_e64 v32, v226, v228, s[74:75]                // 000000008384: D1000020 012BC9E2
	v_cmp_u_f32_e64 s[74:75], v95, v95                         // 00000000838C: D048004A 0002BF5F
	v_add3_u32 v226, v95, v229, 1                              // 000000008394: D1FF00E2 0207CB5F
	v_cndmask_b32_e64 v33, v226, v228, s[74:75]                // 00000000839C: D1000021 012BC9E2
	v_perm_b32 v85, v33, v32, s64                              // 0000000083A4: D1ED0055 01024121
	v_cmp_u_f32_e64 s[74:75], v96, v96                         // 0000000083AC: D048004A 0002C160
	v_add3_u32 v226, v96, v229, 1                              // 0000000083B4: D1FF00E2 0207CB60
	v_cndmask_b32_e64 v32, v226, v228, s[74:75]                // 0000000083BC: D1000020 012BC9E2
	v_cmp_u_f32_e64 s[74:75], v97, v97                         // 0000000083C4: D048004A 0002C361
	v_add3_u32 v226, v97, v229, 1                              // 0000000083CC: D1FF00E2 0207CB61
	v_cndmask_b32_e64 v33, v226, v228, s[74:75]                // 0000000083D4: D1000021 012BC9E2
	v_perm_b32 v86, v33, v32, s64                              // 0000000083DC: D1ED0056 01024121
	v_cmp_u_f32_e64 s[74:75], v98, v98                         // 0000000083E4: D048004A 0002C562
	v_add3_u32 v226, v98, v229, 1                              // 0000000083EC: D1FF00E2 0207CB62
	v_cndmask_b32_e64 v32, v226, v228, s[74:75]                // 0000000083F4: D1000020 012BC9E2
	v_cmp_u_f32_e64 s[74:75], v99, v99                         // 0000000083FC: D048004A 0002C763
	v_add3_u32 v226, v99, v229, 1                              // 000000008404: D1FF00E2 0207CB63
	v_cndmask_b32_e64 v33, v226, v228, s[74:75]                // 00000000840C: D1000021 012BC9E2
	v_perm_b32 v87, v33, v32, s64                              // 000000008414: D1ED0057 01024121
	v_mfma_f32_16x16x16_bf16 v[190:193], v[138:139], v[170:171], v[190:193]// 00000000841C: D3E100BE 06FB558A
	v_mov_b32_dpp v22, v82 quad_perm:[1,0,3,2] row_mask:0xf bank_mask:0xf// 000000008424: 7E2C02FA FF00B152
	v_perm_b32 v58, v22, v82, v21                              // 00000000842C: D1ED003A 0456A516
	v_mov_b32_dpp v22, v83 quad_perm:[1,0,3,2] row_mask:0xf bank_mask:0xf// 000000008434: 7E2C02FA FF00B153
	v_perm_b32 v59, v22, v83, v21                              // 00000000843C: D1ED003B 0456A716
	v_mov_b32_dpp v22, v84 quad_perm:[1,0,3,2] row_mask:0xf bank_mask:0xf// 000000008444: 7E2C02FA FF00B154
	v_perm_b32 v60, v22, v84, v21                              // 00000000844C: D1ED003C 0456A916
	v_mfma_f32_16x16x16_bf16 v[194:197], v[132:133], v[172:173], v[194:197]// 000000008454: D3E100C2 070B5984
	ds_write_b32 v24, v58 offset:24320                         // 00000000845C: D81A5F00 00003A18
	ds_write_b32 v24, v59 offset:24864                         // 000000008464: D81A6120 00003B18
	v_mfma_f32_16x16x16_bf16 v[198:201], v[134:135], v[172:173], v[198:201]// 00000000846C: D3E100C6 071B5986
	v_mov_b32_dpp v22, v85 quad_perm:[1,0,3,2] row_mask:0xf bank_mask:0xf// 000000008474: 7E2C02FA FF00B155
	v_perm_b32 v61, v22, v85, v21                              // 00000000847C: D1ED003D 0456AB16
	v_mov_b32_dpp v22, v86 quad_perm:[1,0,3,2] row_mask:0xf bank_mask:0xf// 000000008484: 7E2C02FA FF00B156
	v_perm_b32 v62, v22, v86, v21                              // 00000000848C: D1ED003E 0456AD16
	v_mov_b32_dpp v22, v87 quad_perm:[1,0,3,2] row_mask:0xf bank_mask:0xf// 000000008494: 7E2C02FA FF00B157
	v_perm_b32 v63, v22, v87, v21                              // 00000000849C: D1ED003F 0456AF16
	v_mfma_f32_16x16x16_bf16 v[202:205], v[136:137], v[172:173], v[202:205]// 0000000084A4: D3E100CA 072B5988
	ds_write_b32 v24, v60 offset:26624                         // 0000000084AC: D81A6800 00003C18
	ds_write_b32 v24, v61 offset:27168                         // 0000000084B4: D81A6A20 00003D18
	ds_write_b32 v24, v62 offset:28928                         // 0000000084BC: D81A7100 00003E18
	ds_write_b32 v24, v63 offset:29472                         // 0000000084C4: D81A7320 00003F18
	v_mfma_f32_16x16x16_bf16 v[206:209], v[138:139], v[172:173], v[206:209]// 0000000084CC: D3E100CE 073B598A
	v_mfma_f32_16x16x16_bf16 v[210:213], v[132:133], v[174:175], v[210:213]// 0000000084D4: D3E100D2 074B5D84
	ds_write_b32 v19, v100 offset:4352                         // 0000000084DC: D81A1100 00006413
	ds_write_b32 v19, v101 offset:5408                         // 0000000084E4: D81A1520 00006513
	v_mfma_f32_16x16x16_bf16 v[214:217], v[134:135], v[174:175], v[214:217]// 0000000084EC: D3E100D6 075B5D86
	v_mfma_f32_16x16x16_bf16 v[218:221], v[136:137], v[174:175], v[218:221]// 0000000084F4: D3E100DA 076B5D88
	ds_write_b32 v19, v102 offset:6528                         // 0000000084FC: D81A1980 00006613
	ds_write_b32 v19, v103 offset:7584                         // 000000008504: D81A1DA0 00006713
	v_mfma_f32_16x16x16_bf16 v[222:225], v[138:139], v[174:175], v[222:225]// 00000000850C: D3E100DE 077B5D8A
	s_nop 0                                                    // 000000008514: BF800000
	s_nop 0                                                    // 000000008518: BF800000
	s_nop 0                                                    // 00000000851C: BF800000
	s_barrier                                                  // 000000008520: BF8A0000
	v_mfma_f32_16x16x16_bf16 a[112:115], a[96:97], v[76:77], a[112:115]// 000000008524: D3E18070 0DC29960
	ds_read_b32 v140, v27 offset:36096                         // 00000000852C: D86C8D00 8C00001B
	ds_read_b32 v144, v27 offset:36160                         // 000000008534: D86C8D40 9000001B
	ds_read_b32 v176, v27 offset:36352                         // 00000000853C: D86C8E00 B000001B
	ds_read_b32 v177, v27 offset:36416                         // 000000008544: D86C8E40 B100001B
	v_mfma_f32_16x16x16_bf16 a[116:119], a[98:99], v[76:77], a[116:119]// 00000000854C: D3E18074 0DD29962
	global_atomic_pk_add_bf16 v6, v156, s[32:33]               // 000000008554: DD488000 00209C06
	v_mfma_f32_16x16x16_bf16 a[120:123], a[100:101], v[76:77], a[120:123]// 00000000855C: D3E18078 0DE29964
	s_waitcnt lgkmcnt(8)                                       // 000000008564: BF8CC87F
	s_barrier                                                  // 000000008568: BF8A0000
	v_mfma_f32_16x16x16_bf16 a[124:127], a[102:103], v[76:77], a[124:127]// 00000000856C: D3E1807C 0DF29966
	v_mfma_f32_16x16x16_bf16 a[128:131], a[96:97], v[78:79], a[128:131]// 000000008574: D3E18080 0E029D60
	ds_read_b128 v[52:55], v23 offset:17408                    // 00000000857C: D9FE4400 34000017
	v_mfma_f32_16x16x16_bf16 a[132:135], a[98:99], v[78:79], a[132:135]// 000000008584: D3E18084 0E129D62
	v_mfma_f32_16x16x16_bf16 a[136:139], a[100:101], v[78:79], a[136:139]// 00000000858C: D3E18088 0E229D64
	ds_read_b128 v[56:59], v23 offset:18560                    // 000000008594: D9FE4880 38000017
	v_mfma_f32_16x16x16_bf16 a[140:143], a[102:103], v[78:79], a[140:143]// 00000000859C: D3E1808C 0E329D66
	global_atomic_pk_add_bf16 v8, v157, s[32:33]               // 0000000085A4: DD488000 00209D08
	v_mfma_f32_16x16x16_bf16 a[144:147], a[96:97], v[80:81], a[144:147]// 0000000085AC: D3E18090 0E42A160
	ds_read_b128 v[60:63], v23 offset:19712                    // 0000000085B4: D9FE4D00 3C000017
	v_mfma_f32_16x16x16_bf16 a[148:151], a[98:99], v[80:81], a[148:151]// 0000000085BC: D3E18094 0E52A162
	v_mfma_f32_16x16x16_bf16 a[152:155], a[100:101], v[80:81], a[152:155]// 0000000085C4: D3E18098 0E62A164
	ds_read_b128 v[64:67], v23 offset:20864                    // 0000000085CC: D9FE5180 40000017
	v_mfma_f32_16x16x16_bf16 a[156:159], a[102:103], v[80:81], a[156:159]// 0000000085D4: D3E1809C 0E72A166
	v_mfma_f32_16x16x16_bf16 a[112:115], a[104:105], v[82:83], a[112:115]// 0000000085DC: D3E18070 0DC2A568
	ds_read_b128 v[68:71], v23 offset:22016                    // 0000000085E4: D9FE5600 44000017
	v_mfma_f32_16x16x16_bf16 a[116:119], a[106:107], v[82:83], a[116:119]// 0000000085EC: D3E18074 0DD2A56A
	global_atomic_pk_add_bf16 v10, v158, s[32:33]              // 0000000085F4: DD488000 00209E0A
	v_mfma_f32_16x16x16_bf16 a[120:123], a[108:109], v[82:83], a[120:123]// 0000000085FC: D3E18078 0DE2A56C
	ds_read_b128 v[72:75], v23 offset:23168                    // 000000008604: D9FE5A80 48000017
	v_mfma_f32_16x16x16_bf16 a[124:127], a[110:111], v[82:83], a[124:127]// 00000000860C: D3E1807C 0DF2A56E
	v_mfma_f32_16x16x16_bf16 a[128:131], a[104:105], v[84:85], a[128:131]// 000000008614: D3E18080 0E02A968
	ds_write_b32 v19, v104 offset:13056                        // 00000000861C: D81A3300 00006813
	v_mfma_f32_16x16x16_bf16 a[132:135], a[106:107], v[84:85], a[132:135]// 000000008624: D3E18084 0E12A96A
	v_mfma_f32_16x16x16_bf16 a[136:139], a[108:109], v[84:85], a[136:139]// 00000000862C: D3E18088 0E22A96C
	ds_write_b32 v19, v105 offset:14112                        // 000000008634: D81A3720 00006913
	v_mfma_f32_16x16x16_bf16 a[140:143], a[110:111], v[84:85], a[140:143]// 00000000863C: D3E1808C 0E32A96E
	global_atomic_pk_add_bf16 v12, v159, s[32:33]              // 000000008644: DD488000 00209F0C
	v_mfma_f32_16x16x16_bf16 a[144:147], a[104:105], v[86:87], a[144:147]// 00000000864C: D3E18090 0E42AD68
	ds_write_b32 v19, v106 offset:15232                        // 000000008654: D81A3B80 00006A13
	v_mfma_f32_16x16x16_bf16 a[148:151], a[106:107], v[86:87], a[148:151]// 00000000865C: D3E18094 0E52AD6A
	v_mfma_f32_16x16x16_bf16 a[152:155], a[108:109], v[86:87], a[152:155]// 000000008664: D3E18098 0E62AD6C
	ds_write_b32 v19, v107 offset:16288                        // 00000000866C: D81A3FA0 00006B13
	v_mfma_f32_16x16x16_bf16 a[156:159], a[110:111], v[86:87], a[156:159]// 000000008674: D3E1809C 0E72AD6E
	s_waitcnt vmcnt(4) lgkmcnt(4)                              // 00000000867C: BF8C0474
	s_barrier                                                  // 000000008680: BF8A0000
	v_mfma_f32_16x16x16_bf16 v[148:151], a[24:25], v[52:53], 0 // 000000008684: D3E10094 0A026918
	ds_read_b128 a[96:99], v16                                 // 00000000868C: DBFE0000 60000010
	buffer_load_dword v40, v1, s[8:11], 0 idxen                // 000000008694: E0502000 80022801
	v_mfma_f32_16x16x16_bf16 v[148:151], a[28:29], v[54:55], v[148:151]// 00000000869C: D3E10094 0E526D1C
	v_mul_f32_e32 v140, s49, v140                              // 0000000086A4: 0B191831
	v_mul_f32_e32 v144, s49, v144                              // 0000000086A8: 0B212031
	s_nop 0                                                    // 0000000086AC: BF800000
	v_mfma_f32_16x16x16_bf16 v[148:151], a[32:33], v[56:57], v[148:151]// 0000000086B0: D3E10094 0E527120
	ds_read_b128 a[100:103], v16 offset:512                    // 0000000086B8: DBFE0200 64000010
	buffer_load_dword v41, v2, s[8:11], 0 idxen                // 0000000086C0: E0502000 80022902
	v_mfma_f32_16x16x16_bf16 v[148:151], a[36:37], v[58:59], v[148:151]// 0000000086C8: D3E10094 0E527524
	v_mfma_f32_16x16x16_bf16 v[148:151], a[40:41], v[60:61], v[148:151]// 0000000086D0: D3E10094 0E527928
	ds_read_b128 a[104:107], v16 offset:2176                   // 0000000086D8: DBFE0880 68000010
	buffer_load_dword v42, v3, s[8:11], 0 idxen                // 0000000086E0: E0502000 80022A03
	v_mfma_f32_16x16x16_bf16 v[148:151], a[44:45], v[62:63], v[148:151]// 0000000086E8: D3E10094 0E527D2C
	v_perm_b32 v100, v37, v36, s63                             // 0000000086F0: D1ED0064 00FE4925
	v_perm_b32 v101, v37, v36, s64                             // 0000000086F8: D1ED0065 01024925
	v_mfma_f32_16x16x16_bf16 v[148:151], a[48:49], v[64:65], v[148:151]// 000000008700: D3E10094 0E528130
	ds_read_b128 a[108:111], v16 offset:2688                   // 000000008708: DBFE0A80 6C000010
	buffer_load_dword v43, v4, s[8:11], 0 idxen                // 000000008710: E0502000 80022B04
	v_mfma_f32_16x16x16_bf16 v[148:151], a[52:53], v[66:67], v[148:151]// 000000008718: D3E10094 0E528534
	v_perm_b32 v102, v39, v38, s63                             // 000000008720: D1ED0066 00FE4D27
	v_perm_b32 v103, v39, v38, s64                             // 000000008728: D1ED0067 01024D27
	v_mfma_f32_16x16x16_bf16 v[148:151], a[56:57], v[68:69], v[148:151]// 000000008730: D3E10094 0E528938
	ds_read_b128 v[108:111], v16 offset:8704                   // 000000008738: D9FE2200 6C000010
	buffer_load_dword v48, v1, s[20:23], 0 idxen               // 000000008740: E0502000 80053001
	v_mfma_f32_16x16x16_bf16 v[148:151], a[60:61], v[70:71], v[148:151]// 000000008748: D3E10094 0E528D3C
	v_perm_b32 v104, v45, v44, s63                             // 000000008750: D1ED0068 00FE592D
	v_perm_b32 v105, v45, v44, s64                             // 000000008758: D1ED0069 0102592D
	v_mfma_f32_16x16x16_bf16 v[148:151], a[64:65], v[72:73], v[148:151]// 000000008760: D3E10094 0E529140
	ds_read_b128 v[112:115], v16 offset:9216                   // 000000008768: D9FE2400 70000010
	buffer_load_dword v49, v2, s[20:23], 0 idxen               // 000000008770: E0502000 80053102
	v_mfma_f32_16x16x16_bf16 v[148:151], a[68:69], v[74:75], v[148:151]// 000000008778: D3E10094 0E529544
	v_perm_b32 v106, v47, v46, s63                             // 000000008780: D1ED006A 00FE5D2F
	v_perm_b32 v107, v47, v46, s64                             // 000000008788: D1ED006B 01025D2F
	v_mfma_f32_16x16x16_bf16 v[152:155], a[26:27], v[52:53], 0 // 000000008790: D3E10098 0A02691A
	ds_read_b128 v[116:119], v16 offset:10880                  // 000000008798: D9FE2A80 74000010
	buffer_load_dword v50, v3, s[20:23], 0 idxen               // 0000000087A0: E0502000 80053203
	v_mfma_f32_16x16x16_bf16 v[152:155], a[30:31], v[54:55], v[152:155]// 0000000087A8: D3E10098 0E626D1E
	v_mov_b32_dpp v143, v140 quad_perm:[3,3,3,3] row_mask:0xf bank_mask:0xf// 0000000087B0: 7F1E02FA FF00FF8C
	v_mov_b32_dpp v142, v140 quad_perm:[2,2,2,2] row_mask:0xf bank_mask:0xf// 0000000087B8: 7F1C02FA FF00AA8C
	v_mov_b32_dpp v141, v140 quad_perm:[1,1,1,1] row_mask:0xf bank_mask:0xf// 0000000087C0: 7F1A02FA FF00558C
	v_mov_b32_dpp v140, v140 quad_perm:[0,0,0,0] row_mask:0xf bank_mask:0xf// 0000000087C8: 7F1802FA FF00008C
	v_mfma_f32_16x16x16_bf16 v[152:155], a[34:35], v[56:57], v[152:155]// 0000000087D0: D3E10098 0E627122
	ds_read_b128 v[120:123], v16 offset:11392                  // 0000000087D8: D9FE2C80 78000010
	buffer_load_dword v51, v4, s[20:23], 0 idxen               // 0000000087E0: E0502000 80053304
	v_mfma_f32_16x16x16_bf16 v[152:155], a[38:39], v[58:59], v[152:155]// 0000000087E8: D3E10098 0E627526
	v_mov_b32_dpp v147, v144 quad_perm:[3,3,3,3] row_mask:0xf bank_mask:0xf// 0000000087F0: 7F2602FA FF00FF90
	v_mov_b32_dpp v146, v144 quad_perm:[2,2,2,2] row_mask:0xf bank_mask:0xf// 0000000087F8: 7F2402FA FF00AA90
	v_mov_b32_dpp v145, v144 quad_perm:[1,1,1,1] row_mask:0xf bank_mask:0xf// 000000008800: 7F2202FA FF005590
	v_mov_b32_dpp v144, v144 quad_perm:[0,0,0,0] row_mask:0xf bank_mask:0xf// 000000008808: 7F2002FA FF000090
	s_add_u32 s60, 0x80, s59                                   // 000000008810: 803C3BFF 00000080
	v_mfma_f32_16x16x16_bf16 v[152:155], a[42:43], v[60:61], v[152:155]// 000000008818: D3E10098 0E62792A
	buffer_load_dword v15, s[24:27], 0 idxen lds               // 000000008820: E0512000 8006000F
	v_mfma_f32_16x16x16_bf16 v[152:155], a[46:47], v[62:63], v[152:155]// 000000008828: D3E10098 0E627D2E
	s_cmp_lt_u32 s60, s58                                      // 000000008830: BF0A3A3C
	s_cselect_b32 s68, s68, 0                                  // 000000008834: 85448044
	s_cselect_b32 s69, s69, 0                                  // 000000008838: 85458045
	v_mfma_f32_16x16x16_bf16 v[152:155], a[50:51], v[64:65], v[152:155]// 00000000883C: D3E10098 0E628132
	s_add_u32 s8, s68, s8                                      // 000000008844: 80080844
	s_addc_u32 s9, 0, s9                                       // 000000008848: 82090980
	v_mfma_f32_16x16x16_bf16 v[152:155], a[54:55], v[66:67], v[152:155]// 00000000884C: D3E10098 0E628536
	s_add_u32 s20, s68, s20                                    // 000000008854: 80141444
	s_addc_u32 s21, 0, s21                                     // 000000008858: 82151580
	v_mfma_f32_16x16x16_bf16 v[152:155], a[58:59], v[68:69], v[152:155]// 00000000885C: D3E10098 0E62893A
	s_mov_b32 m0, s76                                          // 000000008864: BEFC004C
	v_add_u32_e32 v15, s69, v15                                // 000000008868: 681E1E45
	v_mfma_f32_16x16x16_bf16 v[152:155], a[62:63], v[70:71], v[152:155]// 00000000886C: D3E10098 0E628D3E
	s_cmp_ge_u32 s59, 32                                       // 000000008874: BF09A03B
	s_cselect_b32 s66, s67, s66                                // 000000008878: 85424243
	v_mfma_f32_16x16x16_bf16 v[152:155], a[66:67], v[72:73], v[152:155]// 00000000887C: D3E10098 0E629142
	s_addk_i32 s59, 0x20                                       // 000000008884: B73B0020
	s_nop 0                                                    // 000000008888: BF800000
	s_cmp_lt_i32 s59, s58                                      // 00000000888C: BF043A3B
	v_mfma_f32_16x16x16_bf16 v[152:155], a[70:71], v[74:75], v[152:155]// 000000008890: D3E10098 0E629546
	s_cbranch_scc0 label_0DF5                                  // 000000008898: BF84FBCE
	s_waitcnt lgkmcnt(4)                                       // 00000000889C: BF8CC47F
	s_barrier                                                  // 0000000088A0: BF8A0000
	v_mfma_f32_16x16x16_bf16 v[52:55], a[96:97], a[0:1], 0     // 0000000088A4: D3E10034 1A020160
	v_mul_f32_e32 v148, s48, v148                              // 0000000088AC: 0B292830
	v_mul_f32_e32 v149, s48, v149                              // 0000000088B0: 0B2B2A30
	v_mfma_f32_16x16x16_bf16 v[52:55], a[98:99], a[2:3], v[52:55]// 0000000088B4: D3E10034 1CD20562
	ds_write_b32 v17, v44 offset:8704                          // 0000000088BC: D81A2200 00002C11
	ds_write_b32 v17, v45 offset:9760                          // 0000000088C4: D81A2620 00002D11
	v_mfma_f32_16x16x16_bf16 v[52:55], a[100:101], a[4:5], v[52:55]// 0000000088CC: D3E10034 1CD20964
	v_mul_f32_e32 v150, s48, v150                              // 0000000088D4: 0B2D2C30
	v_mul_f32_e32 v151, s48, v151                              // 0000000088D8: 0B2F2E30
	v_mfma_f32_16x16x16_bf16 v[52:55], a[102:103], a[6:7], v[52:55]// 0000000088DC: D3E10034 1CD20D66
	ds_write_b32 v17, v46 offset:10880                         // 0000000088E4: D81A2A80 00002E11
	ds_write_b32 v17, v47 offset:11936                         // 0000000088EC: D81A2EA0 00002F11
	v_mfma_f32_16x16x16_bf16 v[56:59], a[96:97], a[8:9], 0     // 0000000088F4: D3E10038 1A021160
	v_mul_f32_e32 v152, s48, v152                              // 0000000088FC: 0B313030
	v_mul_f32_e32 v153, s48, v153                              // 000000008900: 0B333230
	v_mfma_f32_16x16x16_bf16 v[56:59], a[98:99], a[10:11], v[56:59]// 000000008904: D3E10038 1CE21562
	v_mul_f32_e32 v154, s48, v154                              // 00000000890C: 0B353430
	v_mul_f32_e32 v155, s48, v155                              // 000000008910: 0B373630
	v_mfma_f32_16x16x16_bf16 v[56:59], a[100:101], a[12:13], v[56:59]// 000000008914: D3E10038 1CE21964
	v_cmp_u_f32_e64 s[74:75], v148, v148                       // 00000000891C: D048004A 00032994
	v_add3_u32 v226, v148, v229, 1                             // 000000008924: D1FF00E2 0207CB94
	v_cndmask_b32_e64 v32, v226, v228, s[74:75]                // 00000000892C: D1000020 012BC9E2
	v_cmp_u_f32_e64 s[74:75], v149, v149                       // 000000008934: D048004A 00032B95
	v_add3_u32 v226, v149, v229, 1                             // 00000000893C: D1FF00E2 0207CB95
	v_cndmask_b32_e64 v33, v226, v228, s[74:75]                // 000000008944: D1000021 012BC9E2
	v_perm_b32 v148, v33, v32, s64                             // 00000000894C: D1ED0094 01024121
	v_cmp_u_f32_e64 s[74:75], v150, v150                       // 000000008954: D048004A 00032D96
	v_add3_u32 v226, v150, v229, 1                             // 00000000895C: D1FF00E2 0207CB96
	v_cndmask_b32_e64 v32, v226, v228, s[74:75]                // 000000008964: D1000020 012BC9E2
	v_cmp_u_f32_e64 s[74:75], v151, v151                       // 00000000896C: D048004A 00032F97
	v_add3_u32 v226, v151, v229, 1                             // 000000008974: D1FF00E2 0207CB97
	v_cndmask_b32_e64 v33, v226, v228, s[74:75]                // 00000000897C: D1000021 012BC9E2
	v_perm_b32 v149, v33, v32, s64                             // 000000008984: D1ED0095 01024121
	v_mfma_f32_16x16x16_bf16 v[56:59], a[102:103], a[14:15], v[56:59]// 00000000898C: D3E10038 1CE21D66
	v_cmp_u_f32_e64 s[74:75], v152, v152                       // 000000008994: D048004A 00033198
	v_add3_u32 v226, v152, v229, 1                             // 00000000899C: D1FF00E2 0207CB98
	v_cndmask_b32_e64 v32, v226, v228, s[74:75]                // 0000000089A4: D1000020 012BC9E2
	v_cmp_u_f32_e64 s[74:75], v153, v153                       // 0000000089AC: D048004A 00033399
	v_add3_u32 v226, v153, v229, 1                             // 0000000089B4: D1FF00E2 0207CB99
	v_cndmask_b32_e64 v33, v226, v228, s[74:75]                // 0000000089BC: D1000021 012BC9E2
	v_perm_b32 v150, v33, v32, s64                             // 0000000089C4: D1ED0096 01024121
	v_cmp_u_f32_e64 s[74:75], v154, v154                       // 0000000089CC: D048004A 0003359A
	v_add3_u32 v226, v154, v229, 1                             // 0000000089D4: D1FF00E2 0207CB9A
	v_cndmask_b32_e64 v32, v226, v228, s[74:75]                // 0000000089DC: D1000020 012BC9E2
	v_cmp_u_f32_e64 s[74:75], v155, v155                       // 0000000089E4: D048004A 0003379B
	v_add3_u32 v226, v155, v229, 1                             // 0000000089EC: D1FF00E2 0207CB9B
	v_cndmask_b32_e64 v33, v226, v228, s[74:75]                // 0000000089F4: D1000021 012BC9E2
	v_perm_b32 v151, v33, v32, s64                             // 0000000089FC: D1ED0097 01024121
	v_mfma_f32_16x16x16_bf16 v[60:63], a[96:97], a[16:17], 0   // 000000008A04: D3E1003C 1A022160
	v_mfma_f32_16x16x16_bf16 v[60:63], a[98:99], a[18:19], v[60:63]// 000000008A0C: D3E1003C 1CF22562
	ds_write_b64 v26, v[148:149] offset:31232                  // 000000008A14: D89A7A00 0000941A
	v_mfma_f32_16x16x16_bf16 v[60:63], a[100:101], a[20:21], v[60:63]// 000000008A1C: D3E1003C 1CF22964
	v_mfma_f32_16x16x16_bf16 v[60:63], a[102:103], a[22:23], v[60:63]// 000000008A24: D3E1003C 1CF22D66
	ds_write_b64 v26, v[150:151] offset:31776                  // 000000008A2C: D89A7C20 0000961A
	v_mfma_f32_16x16x16_bf16 v[64:67], a[104:105], a[0:1], 0   // 000000008A34: D3E10040 1A020168
	v_mfma_f32_16x16x16_bf16 v[64:67], a[106:107], a[2:3], v[64:67]// 000000008A3C: D3E10040 1D02056A
	ds_read_b128 v[124:127], v18 offset:13056                  // 000000008A44: D9FE3300 7C000012
	ds_write_b32 v17, v36                                      // 000000008A4C: D81A0000 00002411
	v_mfma_f32_16x16x16_bf16 v[64:67], a[108:109], a[4:5], v[64:67]// 000000008A54: D3E10040 1D02096C
	v_mfma_f32_16x16x16_bf16 v[64:67], a[110:111], a[6:7], v[64:67]// 000000008A5C: D3E10040 1D020D6E
	v_mfma_f32_16x16x16_bf16 v[68:71], a[104:105], a[8:9], 0   // 000000008A64: D3E10044 1A021168
	ds_read_b128 v[128:131], v18 offset:13568                  // 000000008A6C: D9FE3500 80000012
	ds_write_b32 v17, v37 offset:1056                          // 000000008A74: D81A0420 00002511
	v_mfma_f32_16x16x16_bf16 v[68:71], a[106:107], a[10:11], v[68:71]// 000000008A7C: D3E10044 1D12156A
	v_mfma_f32_16x16x16_bf16 v[68:71], a[108:109], a[12:13], v[68:71]// 000000008A84: D3E10044 1D12196C
	v_mfma_f32_16x16x16_bf16 v[68:71], a[110:111], a[14:15], v[68:71]// 000000008A8C: D3E10044 1D121D6E
	ds_read_b128 v[132:135], v18 offset:15232                  // 000000008A94: D9FE3B80 84000012
	ds_write_b32 v17, v38 offset:2176                          // 000000008A9C: D81A0880 00002611
	v_mfma_f32_16x16x16_bf16 v[72:75], a[104:105], a[16:17], 0 // 000000008AA4: D3E10048 1A022168
	v_mfma_f32_16x16x16_bf16 v[72:75], a[106:107], a[18:19], v[72:75]// 000000008AAC: D3E10048 1D22256A
	v_mfma_f32_16x16x16_bf16 v[72:75], a[108:109], a[20:21], v[72:75]// 000000008AB4: D3E10048 1D22296C
	ds_read_b128 v[136:139], v18 offset:15744                  // 000000008ABC: D9FE3D80 88000012
	ds_write_b32 v17, v39 offset:3232                          // 000000008AC4: D81A0CA0 00002711
	v_mfma_f32_16x16x16_bf16 v[72:75], a[110:111], a[22:23], v[72:75]// 000000008ACC: D3E10048 1D222D6E
	s_cmp_lt_i32 s73, 3                                        // 000000008AD4: BF048349
	s_cbranch_scc0 label_12CE                                  // 000000008AD8: BF840017
	s_cmp_eq_i32 s73, 1                                        // 000000008ADC: BF008149
	s_cbranch_scc1 label_12BC                                  // 000000008AE0: BF850003
	s_cmp_eq_i32 s73, 2                                        // 000000008AE4: BF008249
	s_cbranch_scc1 label_12C5                                  // 000000008AE8: BF85000A
	s_branch label_12CE                                        // 000000008AEC: BF820012

0000000000008af0 <label_12BC>:
	v_mov_b32_e32 v56, v230                                    // 000000008AF0: 7E7003E6
	v_mov_b32_e32 v68, v230                                    // 000000008AF4: 7E8803E6
	v_mov_b32_e32 v57, v230                                    // 000000008AF8: 7E7203E6
	v_mov_b32_e32 v69, v230                                    // 000000008AFC: 7E8A03E6
	v_mov_b32_e32 v58, v230                                    // 000000008B00: 7E7403E6
	v_mov_b32_e32 v70, v230                                    // 000000008B04: 7E8C03E6
	v_mov_b32_e32 v59, v230                                    // 000000008B08: 7E7603E6
	v_mov_b32_e32 v71, v230                                    // 000000008B0C: 7E8E03E6
	s_branch label_12C5                                        // 000000008B10: BF820000

0000000000008b14 <label_12C5>:
	v_mov_b32_e32 v60, v230                                    // 000000008B14: 7E7803E6
	v_mov_b32_e32 v72, v230                                    // 000000008B18: 7E9003E6
	v_mov_b32_e32 v61, v230                                    // 000000008B1C: 7E7A03E6
	v_mov_b32_e32 v73, v230                                    // 000000008B20: 7E9203E6
	v_mov_b32_e32 v62, v230                                    // 000000008B24: 7E7C03E6
	v_mov_b32_e32 v74, v230                                    // 000000008B28: 7E9403E6
	v_mov_b32_e32 v63, v230                                    // 000000008B2C: 7E7E03E6
	v_mov_b32_e32 v75, v230                                    // 000000008B30: 7E9603E6
	s_branch label_12CE                                        // 000000008B34: BF820000

0000000000008b38 <label_12CE>:
	s_waitcnt lgkmcnt(8)                                       // 000000008B38: BF8CC87F
	s_barrier                                                  // 000000008B3C: BF8A0000
	v_mfma_f32_16x16x16_bf16 v[76:79], v[108:109], a[72:73], 0 // 000000008B40: D3E1004C 1202916C
	v_fma_f32 v52, v52, s57, -v140                             // 000000008B48: D1CB0034 86307334
	v_fma_f32 v53, v53, s57, -v141                             // 000000008B50: D1CB0035 86347335
	v_fma_f32 v54, v54, s57, -v142                             // 000000008B58: D1CB0036 86387336
	v_fma_f32 v55, v55, s57, -v143                             // 000000008B60: D1CB0037 863C7337
	v_fma_f32 v56, v56, s57, -v140                             // 000000008B68: D1CB0038 86307338
	v_fma_f32 v57, v57, s57, -v141                             // 000000008B70: D1CB0039 86347339
	v_mfma_f32_16x16x16_bf16 v[76:79], v[110:111], a[74:75], v[76:79]// 000000008B78: D3E1004C 1532956E
	ds_read_b128 a[96:99], v18 offset:4352                     // 000000008B80: DBFE1100 60000012
	ds_read_b128 a[100:103], v18 offset:4864                   // 000000008B88: DBFE1300 64000012
	v_mfma_f32_16x16x16_bf16 v[76:79], v[112:113], a[76:77], v[76:79]// 000000008B90: D3E1004C 15329970
	v_fma_f32 v58, v58, s57, -v142                             // 000000008B98: D1CB003A 8638733A
	v_fma_f32 v59, v59, s57, -v143                             // 000000008BA0: D1CB003B 863C733B
	v_fma_f32 v60, v60, s57, -v140                             // 000000008BA8: D1CB003C 8630733C
	v_fma_f32 v61, v61, s57, -v141                             // 000000008BB0: D1CB003D 8634733D
	v_fma_f32 v62, v62, s57, -v142                             // 000000008BB8: D1CB003E 8638733E
	v_fma_f32 v63, v63, s57, -v143                             // 000000008BC0: D1CB003F 863C733F
	v_mfma_f32_16x16x16_bf16 v[76:79], v[114:115], a[78:79], v[76:79]// 000000008BC8: D3E1004C 15329D72
	v_fma_f32 v64, v64, s57, -v144                             // 000000008BD0: D1CB0040 86407340
	v_fma_f32 v65, v65, s57, -v145                             // 000000008BD8: D1CB0041 86447341
	v_fma_f32 v66, v66, s57, -v146                             // 000000008BE0: D1CB0042 86487342
	v_fma_f32 v67, v67, s57, -v147                             // 000000008BE8: D1CB0043 864C7343
	v_fma_f32 v68, v68, s57, -v144                             // 000000008BF0: D1CB0044 86407344
	v_fma_f32 v69, v69, s57, -v145                             // 000000008BF8: D1CB0045 86447345
	v_mfma_f32_16x16x16_bf16 v[80:83], v[108:109], a[80:81], 0 // 000000008C00: D3E10050 1202A16C
	v_fma_f32 v70, v70, s57, -v146                             // 000000008C08: D1CB0046 86487346
	v_fma_f32 v71, v71, s57, -v147                             // 000000008C10: D1CB0047 864C7347
	v_fma_f32 v72, v72, s57, -v144                             // 000000008C18: D1CB0048 86407348
	v_fma_f32 v73, v73, s57, -v145                             // 000000008C20: D1CB0049 86447349
	v_fma_f32 v74, v74, s57, -v146                             // 000000008C28: D1CB004A 8648734A
	v_fma_f32 v75, v75, s57, -v147                             // 000000008C30: D1CB004B 864C734B
	v_mfma_f32_16x16x16_bf16 v[80:83], v[110:111], a[82:83], v[80:83]// 000000008C38: D3E10050 1542A56E
	ds_read_b128 a[104:107], v18 offset:6528                   // 000000008C40: DBFE1980 68000012
	ds_read_b128 a[108:111], v18 offset:7040                   // 000000008C48: DBFE1B80 6C000012
	v_mfma_f32_16x16x16_bf16 v[80:83], v[112:113], a[84:85], v[80:83]// 000000008C50: D3E10050 1542A970
	v_exp_f32_e32 v52, v52                                     // 000000008C58: 7E684134
	v_exp_f32_e32 v53, v53                                     // 000000008C5C: 7E6A4135
	v_mfma_f32_16x16x16_bf16 v[80:83], v[114:115], a[86:87], v[80:83]// 000000008C60: D3E10050 1542AD72
	v_exp_f32_e32 v54, v54                                     // 000000008C68: 7E6C4136
	v_exp_f32_e32 v55, v55                                     // 000000008C6C: 7E6E4137
	v_mfma_f32_16x16x16_bf16 v[84:87], v[108:109], a[88:89], 0 // 000000008C70: D3E10054 1202B16C
	v_exp_f32_e32 v56, v56                                     // 000000008C78: 7E704138
	v_exp_f32_e32 v57, v57                                     // 000000008C7C: 7E724139
	v_mfma_f32_16x16x16_bf16 v[84:87], v[110:111], a[90:91], v[84:87]// 000000008C80: D3E10054 1552B56E
	ds_read_b32 v156, v25 offset:31232                         // 000000008C88: D86C7A00 9C000019
	ds_read_b32 v157, v25 offset:31248                         // 000000008C90: D86C7A10 9D000019
	v_mfma_f32_16x16x16_bf16 v[84:87], v[112:113], a[92:93], v[84:87]// 000000008C98: D3E10054 1552B970
	v_exp_f32_e32 v58, v58                                     // 000000008CA0: 7E74413A
	v_exp_f32_e32 v59, v59                                     // 000000008CA4: 7E76413B
	v_mfma_f32_16x16x16_bf16 v[84:87], v[114:115], a[94:95], v[84:87]// 000000008CA8: D3E10054 1552BD72
	ds_read_b32 v158, v25 offset:31264                         // 000000008CB0: D86C7A20 9E000019
	ds_read_b32 v159, v25 offset:31280                         // 000000008CB8: D86C7A30 9F000019
	v_mfma_f32_16x16x16_bf16 v[88:91], v[116:117], a[72:73], 0 // 000000008CC0: D3E10058 12029174
	v_exp_f32_e32 v60, v60                                     // 000000008CC8: 7E78413C
	v_exp_f32_e32 v61, v61                                     // 000000008CCC: 7E7A413D
	v_mfma_f32_16x16x16_bf16 v[88:91], v[118:119], a[74:75], v[88:91]// 000000008CD0: D3E10058 15629576
	v_exp_f32_e32 v62, v62                                     // 000000008CD8: 7E7C413E
	v_exp_f32_e32 v63, v63                                     // 000000008CDC: 7E7E413F
	v_mfma_f32_16x16x16_bf16 v[88:91], v[120:121], a[76:77], v[88:91]// 000000008CE0: D3E10058 15629978
	v_exp_f32_e32 v64, v64                                     // 000000008CE8: 7E804140
	v_exp_f32_e32 v65, v65                                     // 000000008CEC: 7E824141
	v_mfma_f32_16x16x16_bf16 v[88:91], v[122:123], a[78:79], v[88:91]// 000000008CF0: D3E10058 15629D7A
	v_exp_f32_e32 v66, v66                                     // 000000008CF8: 7E844142
	v_exp_f32_e32 v67, v67                                     // 000000008CFC: 7E864143
	v_mfma_f32_16x16x16_bf16 v[92:95], v[116:117], a[80:81], 0 // 000000008D00: D3E1005C 1202A174
	v_exp_f32_e32 v68, v68                                     // 000000008D08: 7E884144
	v_exp_f32_e32 v69, v69                                     // 000000008D0C: 7E8A4145
	v_mfma_f32_16x16x16_bf16 v[92:95], v[118:119], a[82:83], v[92:95]// 000000008D10: D3E1005C 1572A576
	v_exp_f32_e32 v70, v70                                     // 000000008D18: 7E8C4146
	v_exp_f32_e32 v71, v71                                     // 000000008D1C: 7E8E4147
	v_mfma_f32_16x16x16_bf16 v[92:95], v[120:121], a[84:85], v[92:95]// 000000008D20: D3E1005C 1572A978
	v_exp_f32_e32 v72, v72                                     // 000000008D28: 7E904148
	v_exp_f32_e32 v73, v73                                     // 000000008D2C: 7E924149
	v_mfma_f32_16x16x16_bf16 v[92:95], v[122:123], a[86:87], v[92:95]// 000000008D30: D3E1005C 1572AD7A
	v_exp_f32_e32 v74, v74                                     // 000000008D38: 7E94414A
	v_exp_f32_e32 v75, v75                                     // 000000008D3C: 7E96414B
	v_mfma_f32_16x16x16_bf16 v[96:99], v[116:117], a[88:89], 0 // 000000008D40: D3E10060 1202B174
	v_cmp_u_f32_e64 s[74:75], v52, v52                         // 000000008D48: D048004A 00026934
	v_add3_u32 v226, v52, v229, 1                              // 000000008D50: D1FF00E2 0207CB34
	v_cndmask_b32_e64 v32, v226, v228, s[74:75]                // 000000008D58: D1000020 012BC9E2
	v_cmp_u_f32_e64 s[74:75], v53, v53                         // 000000008D60: D048004A 00026B35
	v_add3_u32 v226, v53, v229, 1                              // 000000008D68: D1FF00E2 0207CB35
	v_cndmask_b32_e64 v33, v226, v228, s[74:75]                // 000000008D70: D1000021 012BC9E2
	v_perm_b32 v164, v33, v32, s64                             // 000000008D78: D1ED00A4 01024121
	v_cmp_u_f32_e64 s[74:75], v54, v54                         // 000000008D80: D048004A 00026D36
	v_add3_u32 v226, v54, v229, 1                              // 000000008D88: D1FF00E2 0207CB36
	v_cndmask_b32_e64 v32, v226, v228, s[74:75]                // 000000008D90: D1000020 012BC9E2
	v_cmp_u_f32_e64 s[74:75], v55, v55                         // 000000008D98: D048004A 00026F37
	v_add3_u32 v226, v55, v229, 1                              // 000000008DA0: D1FF00E2 0207CB37
	v_cndmask_b32_e64 v33, v226, v228, s[74:75]                // 000000008DA8: D1000021 012BC9E2
	v_perm_b32 v165, v33, v32, s64                             // 000000008DB0: D1ED00A5 01024121
	v_cmp_u_f32_e64 s[74:75], v56, v56                         // 000000008DB8: D048004A 00027138
	v_add3_u32 v226, v56, v229, 1                              // 000000008DC0: D1FF00E2 0207CB38
	v_cndmask_b32_e64 v32, v226, v228, s[74:75]                // 000000008DC8: D1000020 012BC9E2
	v_cmp_u_f32_e64 s[74:75], v57, v57                         // 000000008DD0: D048004A 00027339
	v_add3_u32 v226, v57, v229, 1                              // 000000008DD8: D1FF00E2 0207CB39
	v_cndmask_b32_e64 v33, v226, v228, s[74:75]                // 000000008DE0: D1000021 012BC9E2
	v_perm_b32 v166, v33, v32, s64                             // 000000008DE8: D1ED00A6 01024121
	v_cmp_u_f32_e64 s[74:75], v58, v58                         // 000000008DF0: D048004A 0002753A
	v_add3_u32 v226, v58, v229, 1                              // 000000008DF8: D1FF00E2 0207CB3A
	v_cndmask_b32_e64 v32, v226, v228, s[74:75]                // 000000008E00: D1000020 012BC9E2
	v_cmp_u_f32_e64 s[74:75], v59, v59                         // 000000008E08: D048004A 0002773B
	v_add3_u32 v226, v59, v229, 1                              // 000000008E10: D1FF00E2 0207CB3B
	v_cndmask_b32_e64 v33, v226, v228, s[74:75]                // 000000008E18: D1000021 012BC9E2
	v_perm_b32 v167, v33, v32, s64                             // 000000008E20: D1ED00A7 01024121
	v_cmp_u_f32_e64 s[74:75], v60, v60                         // 000000008E28: D048004A 0002793C
	v_add3_u32 v226, v60, v229, 1                              // 000000008E30: D1FF00E2 0207CB3C
	v_cndmask_b32_e64 v32, v226, v228, s[74:75]                // 000000008E38: D1000020 012BC9E2
	v_cmp_u_f32_e64 s[74:75], v61, v61                         // 000000008E40: D048004A 00027B3D
	v_add3_u32 v226, v61, v229, 1                              // 000000008E48: D1FF00E2 0207CB3D
	v_cndmask_b32_e64 v33, v226, v228, s[74:75]                // 000000008E50: D1000021 012BC9E2
	v_perm_b32 v168, v33, v32, s64                             // 000000008E58: D1ED00A8 01024121
	v_cmp_u_f32_e64 s[74:75], v62, v62                         // 000000008E60: D048004A 00027D3E
	v_add3_u32 v226, v62, v229, 1                              // 000000008E68: D1FF00E2 0207CB3E
	v_cndmask_b32_e64 v32, v226, v228, s[74:75]                // 000000008E70: D1000020 012BC9E2
	v_cmp_u_f32_e64 s[74:75], v63, v63                         // 000000008E78: D048004A 00027F3F
	v_add3_u32 v226, v63, v229, 1                              // 000000008E80: D1FF00E2 0207CB3F
	v_cndmask_b32_e64 v33, v226, v228, s[74:75]                // 000000008E88: D1000021 012BC9E2
	v_perm_b32 v169, v33, v32, s64                             // 000000008E90: D1ED00A9 01024121
	v_mfma_f32_16x16x16_bf16 v[96:99], v[118:119], a[90:91], v[96:99]// 000000008E98: D3E10060 1582B576
	v_cmp_u_f32_e64 s[74:75], v64, v64                         // 000000008EA0: D048004A 00028140
	v_add3_u32 v226, v64, v229, 1                              // 000000008EA8: D1FF00E2 0207CB40
	v_cndmask_b32_e64 v32, v226, v228, s[74:75]                // 000000008EB0: D1000020 012BC9E2
	v_cmp_u_f32_e64 s[74:75], v65, v65                         // 000000008EB8: D048004A 00028341
	v_add3_u32 v226, v65, v229, 1                              // 000000008EC0: D1FF00E2 0207CB41
	v_cndmask_b32_e64 v33, v226, v228, s[74:75]                // 000000008EC8: D1000021 012BC9E2
	v_perm_b32 v170, v33, v32, s64                             // 000000008ED0: D1ED00AA 01024121
	v_cmp_u_f32_e64 s[74:75], v66, v66                         // 000000008ED8: D048004A 00028542
	v_add3_u32 v226, v66, v229, 1                              // 000000008EE0: D1FF00E2 0207CB42
	v_cndmask_b32_e64 v32, v226, v228, s[74:75]                // 000000008EE8: D1000020 012BC9E2
	v_cmp_u_f32_e64 s[74:75], v67, v67                         // 000000008EF0: D048004A 00028743
	v_add3_u32 v226, v67, v229, 1                              // 000000008EF8: D1FF00E2 0207CB43
	v_cndmask_b32_e64 v33, v226, v228, s[74:75]                // 000000008F00: D1000021 012BC9E2
	v_perm_b32 v171, v33, v32, s64                             // 000000008F08: D1ED00AB 01024121
	v_cmp_u_f32_e64 s[74:75], v68, v68                         // 000000008F10: D048004A 00028944
	v_add3_u32 v226, v68, v229, 1                              // 000000008F18: D1FF00E2 0207CB44
	v_cndmask_b32_e64 v32, v226, v228, s[74:75]                // 000000008F20: D1000020 012BC9E2
	v_cmp_u_f32_e64 s[74:75], v69, v69                         // 000000008F28: D048004A 00028B45
	v_add3_u32 v226, v69, v229, 1                              // 000000008F30: D1FF00E2 0207CB45
	v_cndmask_b32_e64 v33, v226, v228, s[74:75]                // 000000008F38: D1000021 012BC9E2
	v_perm_b32 v172, v33, v32, s64                             // 000000008F40: D1ED00AC 01024121
	v_cmp_u_f32_e64 s[74:75], v70, v70                         // 000000008F48: D048004A 00028D46
	v_add3_u32 v226, v70, v229, 1                              // 000000008F50: D1FF00E2 0207CB46
	v_cndmask_b32_e64 v32, v226, v228, s[74:75]                // 000000008F58: D1000020 012BC9E2
	v_cmp_u_f32_e64 s[74:75], v71, v71                         // 000000008F60: D048004A 00028F47
	v_add3_u32 v226, v71, v229, 1                              // 000000008F68: D1FF00E2 0207CB47
	v_cndmask_b32_e64 v33, v226, v228, s[74:75]                // 000000008F70: D1000021 012BC9E2
	v_perm_b32 v173, v33, v32, s64                             // 000000008F78: D1ED00AD 01024121
	v_cmp_u_f32_e64 s[74:75], v72, v72                         // 000000008F80: D048004A 00029148
	v_add3_u32 v226, v72, v229, 1                              // 000000008F88: D1FF00E2 0207CB48
	v_cndmask_b32_e64 v32, v226, v228, s[74:75]                // 000000008F90: D1000020 012BC9E2
	v_cmp_u_f32_e64 s[74:75], v73, v73                         // 000000008F98: D048004A 00029349
	v_add3_u32 v226, v73, v229, 1                              // 000000008FA0: D1FF00E2 0207CB49
	v_cndmask_b32_e64 v33, v226, v228, s[74:75]                // 000000008FA8: D1000021 012BC9E2
	v_perm_b32 v174, v33, v32, s64                             // 000000008FB0: D1ED00AE 01024121
	v_cmp_u_f32_e64 s[74:75], v74, v74                         // 000000008FB8: D048004A 0002954A
	v_add3_u32 v226, v74, v229, 1                              // 000000008FC0: D1FF00E2 0207CB4A
	v_cndmask_b32_e64 v32, v226, v228, s[74:75]                // 000000008FC8: D1000020 012BC9E2
	v_cmp_u_f32_e64 s[74:75], v75, v75                         // 000000008FD0: D048004A 0002974B
	v_add3_u32 v226, v75, v229, 1                              // 000000008FD8: D1FF00E2 0207CB4B
	v_cndmask_b32_e64 v33, v226, v228, s[74:75]                // 000000008FE0: D1000021 012BC9E2
	v_perm_b32 v175, v33, v32, s64                             // 000000008FE8: D1ED00AF 01024121
	v_mfma_f32_16x16x16_bf16 v[96:99], v[120:121], a[92:93], v[96:99]// 000000008FF0: D3E10060 1582B978
	s_add_u32 s32, s66, s32                                    // 000000008FF8: 80202042
	s_addc_u32 s33, 0, s33                                     // 000000008FFC: 82212180
	v_mfma_f32_16x16x16_bf16 v[96:99], v[122:123], a[94:95], v[96:99]// 000000009000: D3E10060 1582BD7A
	s_waitcnt lgkmcnt(0)                                       // 000000009008: BF8CC07F
	s_barrier                                                  // 00000000900C: BF8A0000
	v_mfma_f32_16x16x16_bf16 v[178:181], v[124:125], v[164:165], v[178:181]// 000000009010: D3E100B2 06CB497C
	v_subrev_f32_dpp v76, v176, v76 quad_perm:[0,0,0,0] row_mask:0xf bank_mask:0xf// 000000009018: 069898FA FF0000B0
	v_subrev_f32_dpp v77, v176, v77 quad_perm:[1,1,1,1] row_mask:0xf bank_mask:0xf// 000000009020: 069A9AFA FF0055B0
	v_subrev_f32_dpp v78, v176, v78 quad_perm:[2,2,2,2] row_mask:0xf bank_mask:0xf// 000000009028: 069C9CFA FF00AAB0
	v_subrev_f32_dpp v79, v176, v79 quad_perm:[3,3,3,3] row_mask:0xf bank_mask:0xf// 000000009030: 069E9EFA FF00FFB0
	v_subrev_f32_dpp v80, v176, v80 quad_perm:[0,0,0,0] row_mask:0xf bank_mask:0xf// 000000009038: 06A0A0FA FF0000B0
	v_subrev_f32_dpp v81, v176, v81 quad_perm:[1,1,1,1] row_mask:0xf bank_mask:0xf// 000000009040: 06A2A2FA FF0055B0
	v_mfma_f32_16x16x16_bf16 v[182:185], v[126:127], v[164:165], v[182:185]// 000000009048: D3E100B6 06DB497E
	v_subrev_f32_dpp v82, v176, v82 quad_perm:[2,2,2,2] row_mask:0xf bank_mask:0xf// 000000009050: 06A4A4FA FF00AAB0
	v_subrev_f32_dpp v83, v176, v83 quad_perm:[3,3,3,3] row_mask:0xf bank_mask:0xf// 000000009058: 06A6A6FA FF00FFB0
	v_subrev_f32_dpp v84, v176, v84 quad_perm:[0,0,0,0] row_mask:0xf bank_mask:0xf// 000000009060: 06A8A8FA FF0000B0
	v_subrev_f32_dpp v85, v176, v85 quad_perm:[1,1,1,1] row_mask:0xf bank_mask:0xf// 000000009068: 06AAAAFA FF0055B0
	v_subrev_f32_dpp v86, v176, v86 quad_perm:[2,2,2,2] row_mask:0xf bank_mask:0xf// 000000009070: 06ACACFA FF00AAB0
	v_subrev_f32_dpp v87, v176, v87 quad_perm:[3,3,3,3] row_mask:0xf bank_mask:0xf// 000000009078: 06AEAEFA FF00FFB0
	v_mfma_f32_16x16x16_bf16 v[186:189], v[128:129], v[164:165], v[186:189]// 000000009080: D3E100BA 06EB4980
	v_mul_f32_e32 v76, v52, v76                                // 000000009088: 0A989934
	v_mul_f32_e32 v77, v53, v77                                // 00000000908C: 0A9A9B35
	v_mul_f32_e32 v78, v54, v78                                // 000000009090: 0A9C9D36
	v_mul_f32_e32 v79, v55, v79                                // 000000009094: 0A9E9F37
	v_mul_f32_e32 v80, v56, v80                                // 000000009098: 0AA0A138
	v_mul_f32_e32 v81, v57, v81                                // 00000000909C: 0AA2A339
	v_mfma_f32_16x16x16_bf16 v[190:193], v[130:131], v[164:165], v[190:193]// 0000000090A0: D3E100BE 06FB4982
	v_mul_f32_e32 v82, v58, v82                                // 0000000090A8: 0AA4A53A
	v_mul_f32_e32 v83, v59, v83                                // 0000000090AC: 0AA6A73B
	v_mul_f32_e32 v84, v60, v84                                // 0000000090B0: 0AA8A93C
	v_mul_f32_e32 v85, v61, v85                                // 0000000090B4: 0AAAAB3D
	v_mul_f32_e32 v86, v62, v86                                // 0000000090B8: 0AACAD3E
	v_mul_f32_e32 v87, v63, v87                                // 0000000090BC: 0AAEAF3F
	v_mfma_f32_16x16x16_bf16 v[194:197], v[124:125], v[166:167], v[194:197]// 0000000090C0: D3E100C2 070B4D7C
	v_cmp_u_f32_e64 s[74:75], v76, v76                         // 0000000090C8: D048004A 0002994C
	v_add3_u32 v226, v76, v229, 1                              // 0000000090D0: D1FF00E2 0207CB4C
	v_cndmask_b32_e64 v32, v226, v228, s[74:75]                // 0000000090D8: D1000020 012BC9E2
	v_cmp_u_f32_e64 s[74:75], v77, v77                         // 0000000090E0: D048004A 00029B4D
	v_add3_u32 v226, v77, v229, 1                              // 0000000090E8: D1FF00E2 0207CB4D
	v_cndmask_b32_e64 v33, v226, v228, s[74:75]                // 0000000090F0: D1000021 012BC9E2
	v_perm_b32 v76, v33, v32, s64                              // 0000000090F8: D1ED004C 01024121
	v_cmp_u_f32_e64 s[74:75], v78, v78                         // 000000009100: D048004A 00029D4E
	v_add3_u32 v226, v78, v229, 1                              // 000000009108: D1FF00E2 0207CB4E
	v_cndmask_b32_e64 v32, v226, v228, s[74:75]                // 000000009110: D1000020 012BC9E2
	v_cmp_u_f32_e64 s[74:75], v79, v79                         // 000000009118: D048004A 00029F4F
	v_add3_u32 v226, v79, v229, 1                              // 000000009120: D1FF00E2 0207CB4F
	v_cndmask_b32_e64 v33, v226, v228, s[74:75]                // 000000009128: D1000021 012BC9E2
	v_perm_b32 v77, v33, v32, s64                              // 000000009130: D1ED004D 01024121
	v_cmp_u_f32_e64 s[74:75], v80, v80                         // 000000009138: D048004A 0002A150
	v_add3_u32 v226, v80, v229, 1                              // 000000009140: D1FF00E2 0207CB50
	v_cndmask_b32_e64 v32, v226, v228, s[74:75]                // 000000009148: D1000020 012BC9E2
	v_cmp_u_f32_e64 s[74:75], v81, v81                         // 000000009150: D048004A 0002A351
	v_add3_u32 v226, v81, v229, 1                              // 000000009158: D1FF00E2 0207CB51
	v_cndmask_b32_e64 v33, v226, v228, s[74:75]                // 000000009160: D1000021 012BC9E2
	v_perm_b32 v78, v33, v32, s64                              // 000000009168: D1ED004E 01024121
	v_cmp_u_f32_e64 s[74:75], v82, v82                         // 000000009170: D048004A 0002A552
	v_add3_u32 v226, v82, v229, 1                              // 000000009178: D1FF00E2 0207CB52
	v_cndmask_b32_e64 v32, v226, v228, s[74:75]                // 000000009180: D1000020 012BC9E2
	v_cmp_u_f32_e64 s[74:75], v83, v83                         // 000000009188: D048004A 0002A753
	v_add3_u32 v226, v83, v229, 1                              // 000000009190: D1FF00E2 0207CB53
	v_cndmask_b32_e64 v33, v226, v228, s[74:75]                // 000000009198: D1000021 012BC9E2
	v_perm_b32 v79, v33, v32, s64                              // 0000000091A0: D1ED004F 01024121
	v_cmp_u_f32_e64 s[74:75], v84, v84                         // 0000000091A8: D048004A 0002A954
	v_add3_u32 v226, v84, v229, 1                              // 0000000091B0: D1FF00E2 0207CB54
	v_cndmask_b32_e64 v32, v226, v228, s[74:75]                // 0000000091B8: D1000020 012BC9E2
	v_cmp_u_f32_e64 s[74:75], v85, v85                         // 0000000091C0: D048004A 0002AB55
	v_add3_u32 v226, v85, v229, 1                              // 0000000091C8: D1FF00E2 0207CB55
	v_cndmask_b32_e64 v33, v226, v228, s[74:75]                // 0000000091D0: D1000021 012BC9E2
	v_perm_b32 v80, v33, v32, s64                              // 0000000091D8: D1ED0050 01024121
	v_cmp_u_f32_e64 s[74:75], v86, v86                         // 0000000091E0: D048004A 0002AD56
	v_add3_u32 v226, v86, v229, 1                              // 0000000091E8: D1FF00E2 0207CB56
	v_cndmask_b32_e64 v32, v226, v228, s[74:75]                // 0000000091F0: D1000020 012BC9E2
	v_cmp_u_f32_e64 s[74:75], v87, v87                         // 0000000091F8: D048004A 0002AF57
	v_add3_u32 v226, v87, v229, 1                              // 000000009200: D1FF00E2 0207CB57
	v_cndmask_b32_e64 v33, v226, v228, s[74:75]                // 000000009208: D1000021 012BC9E2
	v_perm_b32 v81, v33, v32, s64                              // 000000009210: D1ED0051 01024121
	v_mfma_f32_16x16x16_bf16 v[198:201], v[126:127], v[166:167], v[198:201]// 000000009218: D3E100C6 071B4D7E
	v_mov_b32_dpp v22, v76 quad_perm:[1,0,3,2] row_mask:0xf bank_mask:0xf// 000000009220: 7E2C02FA FF00B14C
	v_perm_b32 v52, v22, v76, v21                              // 000000009228: D1ED0034 04569916
	v_mov_b32_dpp v22, v77 quad_perm:[1,0,3,2] row_mask:0xf bank_mask:0xf// 000000009230: 7E2C02FA FF00B14D
	v_perm_b32 v53, v22, v77, v21                              // 000000009238: D1ED0035 04569B16
	v_mov_b32_dpp v22, v78 quad_perm:[1,0,3,2] row_mask:0xf bank_mask:0xf// 000000009240: 7E2C02FA FF00B14E
	v_perm_b32 v54, v22, v78, v21                              // 000000009248: D1ED0036 04569D16
	v_mfma_f32_16x16x16_bf16 v[202:205], v[128:129], v[166:167], v[202:205]// 000000009250: D3E100CA 072B4D80
	ds_write_b32 v24, v52 offset:17408                         // 000000009258: D81A4400 00003418
	ds_write_b32 v24, v53 offset:17952                         // 000000009260: D81A4620 00003518
	v_mfma_f32_16x16x16_bf16 v[206:209], v[130:131], v[166:167], v[206:209]// 000000009268: D3E100CE 073B4D82
	v_mov_b32_dpp v22, v79 quad_perm:[1,0,3,2] row_mask:0xf bank_mask:0xf// 000000009270: 7E2C02FA FF00B14F
	v_perm_b32 v55, v22, v79, v21                              // 000000009278: D1ED0037 04569F16
	v_mov_b32_dpp v22, v80 quad_perm:[1,0,3,2] row_mask:0xf bank_mask:0xf// 000000009280: 7E2C02FA FF00B150
	v_perm_b32 v56, v22, v80, v21                              // 000000009288: D1ED0038 0456A116
	v_mov_b32_dpp v22, v81 quad_perm:[1,0,3,2] row_mask:0xf bank_mask:0xf// 000000009290: 7E2C02FA FF00B151
	v_perm_b32 v57, v22, v81, v21                              // 000000009298: D1ED0039 0456A316
	v_mfma_f32_16x16x16_bf16 v[210:213], v[124:125], v[168:169], v[210:213]// 0000000092A0: D3E100D2 074B517C
	ds_write_b32 v24, v54 offset:19712                         // 0000000092A8: D81A4D00 00003618
	ds_write_b32 v24, v55 offset:20256                         // 0000000092B0: D81A4F20 00003718
	v_mfma_f32_16x16x16_bf16 v[214:217], v[126:127], v[168:169], v[214:217]// 0000000092B8: D3E100D6 075B517E
	v_subrev_f32_dpp v88, v177, v88 quad_perm:[0,0,0,0] row_mask:0xf bank_mask:0xf// 0000000092C0: 06B0B0FA FF0000B1
	v_subrev_f32_dpp v89, v177, v89 quad_perm:[1,1,1,1] row_mask:0xf bank_mask:0xf// 0000000092C8: 06B2B2FA FF0055B1
	v_subrev_f32_dpp v90, v177, v90 quad_perm:[2,2,2,2] row_mask:0xf bank_mask:0xf// 0000000092D0: 06B4B4FA FF00AAB1
	v_subrev_f32_dpp v91, v177, v91 quad_perm:[3,3,3,3] row_mask:0xf bank_mask:0xf// 0000000092D8: 06B6B6FA FF00FFB1
	v_subrev_f32_dpp v92, v177, v92 quad_perm:[0,0,0,0] row_mask:0xf bank_mask:0xf// 0000000092E0: 06B8B8FA FF0000B1
	v_subrev_f32_dpp v93, v177, v93 quad_perm:[1,1,1,1] row_mask:0xf bank_mask:0xf// 0000000092E8: 06BABAFA FF0055B1
	v_mfma_f32_16x16x16_bf16 v[218:221], v[128:129], v[168:169], v[218:221]// 0000000092F0: D3E100DA 076B5180
	ds_write_b32 v24, v56 offset:22016                         // 0000000092F8: D81A5600 00003818
	ds_write_b32 v24, v57 offset:22560                         // 000000009300: D81A5820 00003918
	v_mfma_f32_16x16x16_bf16 v[222:225], v[130:131], v[168:169], v[222:225]// 000000009308: D3E100DE 077B5182
	v_subrev_f32_dpp v94, v177, v94 quad_perm:[2,2,2,2] row_mask:0xf bank_mask:0xf// 000000009310: 06BCBCFA FF00AAB1
	v_subrev_f32_dpp v95, v177, v95 quad_perm:[3,3,3,3] row_mask:0xf bank_mask:0xf// 000000009318: 06BEBEFA FF00FFB1
	v_subrev_f32_dpp v96, v177, v96 quad_perm:[0,0,0,0] row_mask:0xf bank_mask:0xf// 000000009320: 06C0C0FA FF0000B1
	v_subrev_f32_dpp v97, v177, v97 quad_perm:[1,1,1,1] row_mask:0xf bank_mask:0xf// 000000009328: 06C2C2FA FF0055B1
	v_subrev_f32_dpp v98, v177, v98 quad_perm:[2,2,2,2] row_mask:0xf bank_mask:0xf// 000000009330: 06C4C4FA FF00AAB1
	v_subrev_f32_dpp v99, v177, v99 quad_perm:[3,3,3,3] row_mask:0xf bank_mask:0xf// 000000009338: 06C6C6FA FF00FFB1
	v_mfma_f32_16x16x16_bf16 v[178:181], v[132:133], v[170:171], v[178:181]// 000000009340: D3E100B2 06CB5584
	v_mul_f32_e32 v88, v64, v88                                // 000000009348: 0AB0B140
	v_mul_f32_e32 v89, v65, v89                                // 00000000934C: 0AB2B341
	v_mul_f32_e32 v90, v66, v90                                // 000000009350: 0AB4B542
	v_mul_f32_e32 v91, v67, v91                                // 000000009354: 0AB6B743
	v_mul_f32_e32 v92, v68, v92                                // 000000009358: 0AB8B944
	v_mul_f32_e32 v93, v69, v93                                // 00000000935C: 0ABABB45
	v_mfma_f32_16x16x16_bf16 v[182:185], v[134:135], v[170:171], v[182:185]// 000000009360: D3E100B6 06DB5586
	v_mul_f32_e32 v94, v70, v94                                // 000000009368: 0ABCBD46
	v_mul_f32_e32 v95, v71, v95                                // 00000000936C: 0ABEBF47
	v_mul_f32_e32 v96, v72, v96                                // 000000009370: 0AC0C148
	v_mul_f32_e32 v97, v73, v97                                // 000000009374: 0AC2C349
	v_mul_f32_e32 v98, v74, v98                                // 000000009378: 0AC4C54A
	v_mul_f32_e32 v99, v75, v99                                // 00000000937C: 0AC6C74B
	v_mfma_f32_16x16x16_bf16 v[186:189], v[136:137], v[170:171], v[186:189]// 000000009380: D3E100BA 06EB5588
	v_cmp_u_f32_e64 s[74:75], v88, v88                         // 000000009388: D048004A 0002B158
	v_add3_u32 v226, v88, v229, 1                              // 000000009390: D1FF00E2 0207CB58
	v_cndmask_b32_e64 v32, v226, v228, s[74:75]                // 000000009398: D1000020 012BC9E2
	v_cmp_u_f32_e64 s[74:75], v89, v89                         // 0000000093A0: D048004A 0002B359
	v_add3_u32 v226, v89, v229, 1                              // 0000000093A8: D1FF00E2 0207CB59
	v_cndmask_b32_e64 v33, v226, v228, s[74:75]                // 0000000093B0: D1000021 012BC9E2
	v_perm_b32 v82, v33, v32, s64                              // 0000000093B8: D1ED0052 01024121
	v_cmp_u_f32_e64 s[74:75], v90, v90                         // 0000000093C0: D048004A 0002B55A
	v_add3_u32 v226, v90, v229, 1                              // 0000000093C8: D1FF00E2 0207CB5A
	v_cndmask_b32_e64 v32, v226, v228, s[74:75]                // 0000000093D0: D1000020 012BC9E2
	v_cmp_u_f32_e64 s[74:75], v91, v91                         // 0000000093D8: D048004A 0002B75B
	v_add3_u32 v226, v91, v229, 1                              // 0000000093E0: D1FF00E2 0207CB5B
	v_cndmask_b32_e64 v33, v226, v228, s[74:75]                // 0000000093E8: D1000021 012BC9E2
	v_perm_b32 v83, v33, v32, s64                              // 0000000093F0: D1ED0053 01024121
	v_cmp_u_f32_e64 s[74:75], v92, v92                         // 0000000093F8: D048004A 0002B95C
	v_add3_u32 v226, v92, v229, 1                              // 000000009400: D1FF00E2 0207CB5C
	v_cndmask_b32_e64 v32, v226, v228, s[74:75]                // 000000009408: D1000020 012BC9E2
	v_cmp_u_f32_e64 s[74:75], v93, v93                         // 000000009410: D048004A 0002BB5D
	v_add3_u32 v226, v93, v229, 1                              // 000000009418: D1FF00E2 0207CB5D
	v_cndmask_b32_e64 v33, v226, v228, s[74:75]                // 000000009420: D1000021 012BC9E2
	v_perm_b32 v84, v33, v32, s64                              // 000000009428: D1ED0054 01024121
	v_cmp_u_f32_e64 s[74:75], v94, v94                         // 000000009430: D048004A 0002BD5E
	v_add3_u32 v226, v94, v229, 1                              // 000000009438: D1FF00E2 0207CB5E
	v_cndmask_b32_e64 v32, v226, v228, s[74:75]                // 000000009440: D1000020 012BC9E2
	v_cmp_u_f32_e64 s[74:75], v95, v95                         // 000000009448: D048004A 0002BF5F
	v_add3_u32 v226, v95, v229, 1                              // 000000009450: D1FF00E2 0207CB5F
	v_cndmask_b32_e64 v33, v226, v228, s[74:75]                // 000000009458: D1000021 012BC9E2
	v_perm_b32 v85, v33, v32, s64                              // 000000009460: D1ED0055 01024121
	v_cmp_u_f32_e64 s[74:75], v96, v96                         // 000000009468: D048004A 0002C160
	v_add3_u32 v226, v96, v229, 1                              // 000000009470: D1FF00E2 0207CB60
	v_cndmask_b32_e64 v32, v226, v228, s[74:75]                // 000000009478: D1000020 012BC9E2
	v_cmp_u_f32_e64 s[74:75], v97, v97                         // 000000009480: D048004A 0002C361
	v_add3_u32 v226, v97, v229, 1                              // 000000009488: D1FF00E2 0207CB61
	v_cndmask_b32_e64 v33, v226, v228, s[74:75]                // 000000009490: D1000021 012BC9E2
	v_perm_b32 v86, v33, v32, s64                              // 000000009498: D1ED0056 01024121
	v_cmp_u_f32_e64 s[74:75], v98, v98                         // 0000000094A0: D048004A 0002C562
	v_add3_u32 v226, v98, v229, 1                              // 0000000094A8: D1FF00E2 0207CB62
	v_cndmask_b32_e64 v32, v226, v228, s[74:75]                // 0000000094B0: D1000020 012BC9E2
	v_cmp_u_f32_e64 s[74:75], v99, v99                         // 0000000094B8: D048004A 0002C763
	v_add3_u32 v226, v99, v229, 1                              // 0000000094C0: D1FF00E2 0207CB63
	v_cndmask_b32_e64 v33, v226, v228, s[74:75]                // 0000000094C8: D1000021 012BC9E2
	v_perm_b32 v87, v33, v32, s64                              // 0000000094D0: D1ED0057 01024121
	v_mfma_f32_16x16x16_bf16 v[190:193], v[138:139], v[170:171], v[190:193]// 0000000094D8: D3E100BE 06FB558A
	v_mov_b32_dpp v22, v82 quad_perm:[1,0,3,2] row_mask:0xf bank_mask:0xf// 0000000094E0: 7E2C02FA FF00B152
	v_perm_b32 v58, v22, v82, v21                              // 0000000094E8: D1ED003A 0456A516
	v_mov_b32_dpp v22, v83 quad_perm:[1,0,3,2] row_mask:0xf bank_mask:0xf// 0000000094F0: 7E2C02FA FF00B153
	v_perm_b32 v59, v22, v83, v21                              // 0000000094F8: D1ED003B 0456A716
	v_mov_b32_dpp v22, v84 quad_perm:[1,0,3,2] row_mask:0xf bank_mask:0xf// 000000009500: 7E2C02FA FF00B154
	v_perm_b32 v60, v22, v84, v21                              // 000000009508: D1ED003C 0456A916
	v_mfma_f32_16x16x16_bf16 v[194:197], v[132:133], v[172:173], v[194:197]// 000000009510: D3E100C2 070B5984
	ds_write_b32 v24, v58 offset:24320                         // 000000009518: D81A5F00 00003A18
	ds_write_b32 v24, v59 offset:24864                         // 000000009520: D81A6120 00003B18
	v_mfma_f32_16x16x16_bf16 v[198:201], v[134:135], v[172:173], v[198:201]// 000000009528: D3E100C6 071B5986
	v_mov_b32_dpp v22, v85 quad_perm:[1,0,3,2] row_mask:0xf bank_mask:0xf// 000000009530: 7E2C02FA FF00B155
	v_perm_b32 v61, v22, v85, v21                              // 000000009538: D1ED003D 0456AB16
	v_mov_b32_dpp v22, v86 quad_perm:[1,0,3,2] row_mask:0xf bank_mask:0xf// 000000009540: 7E2C02FA FF00B156
	v_perm_b32 v62, v22, v86, v21                              // 000000009548: D1ED003E 0456AD16
	v_mov_b32_dpp v22, v87 quad_perm:[1,0,3,2] row_mask:0xf bank_mask:0xf// 000000009550: 7E2C02FA FF00B157
	v_perm_b32 v63, v22, v87, v21                              // 000000009558: D1ED003F 0456AF16
	v_mfma_f32_16x16x16_bf16 v[202:205], v[136:137], v[172:173], v[202:205]// 000000009560: D3E100CA 072B5988
	ds_write_b32 v24, v60 offset:26624                         // 000000009568: D81A6800 00003C18
	ds_write_b32 v24, v61 offset:27168                         // 000000009570: D81A6A20 00003D18
	ds_write_b32 v24, v62 offset:28928                         // 000000009578: D81A7100 00003E18
	ds_write_b32 v24, v63 offset:29472                         // 000000009580: D81A7320 00003F18
	v_mfma_f32_16x16x16_bf16 v[206:209], v[138:139], v[172:173], v[206:209]// 000000009588: D3E100CE 073B598A
	v_mfma_f32_16x16x16_bf16 v[210:213], v[132:133], v[174:175], v[210:213]// 000000009590: D3E100D2 074B5D84
	ds_write_b32 v19, v100 offset:4352                         // 000000009598: D81A1100 00006413
	ds_write_b32 v19, v101 offset:5408                         // 0000000095A0: D81A1520 00006513
	v_mfma_f32_16x16x16_bf16 v[214:217], v[134:135], v[174:175], v[214:217]// 0000000095A8: D3E100D6 075B5D86
	v_mfma_f32_16x16x16_bf16 v[218:221], v[136:137], v[174:175], v[218:221]// 0000000095B0: D3E100DA 076B5D88
	ds_write_b32 v19, v102 offset:6528                         // 0000000095B8: D81A1980 00006613
	ds_write_b32 v19, v103 offset:7584                         // 0000000095C0: D81A1DA0 00006713
	v_mfma_f32_16x16x16_bf16 v[222:225], v[138:139], v[174:175], v[222:225]// 0000000095C8: D3E100DE 077B5D8A
	s_nop 0                                                    // 0000000095D0: BF800000
	s_nop 0                                                    // 0000000095D4: BF800000
	s_nop 0                                                    // 0000000095D8: BF800000
	s_barrier                                                  // 0000000095DC: BF8A0000
	v_mfma_f32_16x16x16_bf16 a[112:115], a[96:97], v[76:77], a[112:115]// 0000000095E0: D3E18070 0DC29960
	ds_read_b32 v140, v27 offset:35584                         // 0000000095E8: D86C8B00 8C00001B
	ds_read_b32 v144, v27 offset:35648                         // 0000000095F0: D86C8B40 9000001B
	ds_read_b32 v176, v27 offset:35840                         // 0000000095F8: D86C8C00 B000001B
	ds_read_b32 v177, v27 offset:35904                         // 000000009600: D86C8C40 B100001B
	v_mfma_f32_16x16x16_bf16 a[116:119], a[98:99], v[76:77], a[116:119]// 000000009608: D3E18074 0DD29962
	global_atomic_pk_add_bf16 v6, v156, s[32:33]               // 000000009610: DD488000 00209C06
	v_mfma_f32_16x16x16_bf16 a[120:123], a[100:101], v[76:77], a[120:123]// 000000009618: D3E18078 0DE29964
	s_waitcnt lgkmcnt(8)                                       // 000000009620: BF8CC87F
	s_barrier                                                  // 000000009624: BF8A0000
	v_mfma_f32_16x16x16_bf16 a[124:127], a[102:103], v[76:77], a[124:127]// 000000009628: D3E1807C 0DF29966
	v_mfma_f32_16x16x16_bf16 a[128:131], a[96:97], v[78:79], a[128:131]// 000000009630: D3E18080 0E029D60
	ds_read_b128 v[52:55], v23 offset:17408                    // 000000009638: D9FE4400 34000017
	v_mfma_f32_16x16x16_bf16 a[132:135], a[98:99], v[78:79], a[132:135]// 000000009640: D3E18084 0E129D62
	v_mfma_f32_16x16x16_bf16 a[136:139], a[100:101], v[78:79], a[136:139]// 000000009648: D3E18088 0E229D64
	ds_read_b128 v[56:59], v23 offset:18560                    // 000000009650: D9FE4880 38000017
	v_mfma_f32_16x16x16_bf16 a[140:143], a[102:103], v[78:79], a[140:143]// 000000009658: D3E1808C 0E329D66
	global_atomic_pk_add_bf16 v8, v157, s[32:33]               // 000000009660: DD488000 00209D08
	v_mfma_f32_16x16x16_bf16 a[144:147], a[96:97], v[80:81], a[144:147]// 000000009668: D3E18090 0E42A160
	ds_read_b128 v[60:63], v23 offset:19712                    // 000000009670: D9FE4D00 3C000017
	v_mfma_f32_16x16x16_bf16 a[148:151], a[98:99], v[80:81], a[148:151]// 000000009678: D3E18094 0E52A162
	v_mfma_f32_16x16x16_bf16 a[152:155], a[100:101], v[80:81], a[152:155]// 000000009680: D3E18098 0E62A164
	ds_read_b128 v[64:67], v23 offset:20864                    // 000000009688: D9FE5180 40000017
	v_mfma_f32_16x16x16_bf16 a[156:159], a[102:103], v[80:81], a[156:159]// 000000009690: D3E1809C 0E72A166
	v_mfma_f32_16x16x16_bf16 a[112:115], a[104:105], v[82:83], a[112:115]// 000000009698: D3E18070 0DC2A568
	ds_read_b128 v[68:71], v23 offset:22016                    // 0000000096A0: D9FE5600 44000017
	v_mfma_f32_16x16x16_bf16 a[116:119], a[106:107], v[82:83], a[116:119]// 0000000096A8: D3E18074 0DD2A56A
	global_atomic_pk_add_bf16 v10, v158, s[32:33]              // 0000000096B0: DD488000 00209E0A
	v_mfma_f32_16x16x16_bf16 a[120:123], a[108:109], v[82:83], a[120:123]// 0000000096B8: D3E18078 0DE2A56C
	ds_read_b128 v[72:75], v23 offset:23168                    // 0000000096C0: D9FE5A80 48000017
	v_mfma_f32_16x16x16_bf16 a[124:127], a[110:111], v[82:83], a[124:127]// 0000000096C8: D3E1807C 0DF2A56E
	v_mfma_f32_16x16x16_bf16 a[128:131], a[104:105], v[84:85], a[128:131]// 0000000096D0: D3E18080 0E02A968
	ds_write_b32 v19, v104 offset:13056                        // 0000000096D8: D81A3300 00006813
	v_mfma_f32_16x16x16_bf16 a[132:135], a[106:107], v[84:85], a[132:135]// 0000000096E0: D3E18084 0E12A96A
	v_mfma_f32_16x16x16_bf16 a[136:139], a[108:109], v[84:85], a[136:139]// 0000000096E8: D3E18088 0E22A96C
	ds_write_b32 v19, v105 offset:14112                        // 0000000096F0: D81A3720 00006913
	v_mfma_f32_16x16x16_bf16 a[140:143], a[110:111], v[84:85], a[140:143]// 0000000096F8: D3E1808C 0E32A96E
	global_atomic_pk_add_bf16 v12, v159, s[32:33]              // 000000009700: DD488000 00209F0C
	v_mfma_f32_16x16x16_bf16 a[144:147], a[104:105], v[86:87], a[144:147]// 000000009708: D3E18090 0E42AD68
	ds_write_b32 v19, v106 offset:15232                        // 000000009710: D81A3B80 00006A13
	v_mfma_f32_16x16x16_bf16 a[148:151], a[106:107], v[86:87], a[148:151]// 000000009718: D3E18094 0E52AD6A
	v_mfma_f32_16x16x16_bf16 a[152:155], a[108:109], v[86:87], a[152:155]// 000000009720: D3E18098 0E62AD6C
	ds_write_b32 v19, v107 offset:16288                        // 000000009728: D81A3FA0 00006B13
	v_mfma_f32_16x16x16_bf16 a[156:159], a[110:111], v[86:87], a[156:159]// 000000009730: D3E1809C 0E72AD6E
	s_waitcnt vmcnt(4) lgkmcnt(4)                              // 000000009738: BF8C0474
	s_barrier                                                  // 00000000973C: BF8A0000
	v_mfma_f32_16x16x16_bf16 v[148:151], a[24:25], v[52:53], 0 // 000000009740: D3E10094 0A026918
	ds_read_b128 a[96:99], v16                                 // 000000009748: DBFE0000 60000010
	buffer_load_dword v36, v1, s[8:11], 0 idxen                // 000000009750: E0502000 80022401
	v_mfma_f32_16x16x16_bf16 v[148:151], a[28:29], v[54:55], v[148:151]// 000000009758: D3E10094 0E526D1C
	v_mul_f32_e32 v140, s49, v140                              // 000000009760: 0B191831
	v_mul_f32_e32 v144, s49, v144                              // 000000009764: 0B212031
	s_nop 0                                                    // 000000009768: BF800000
	v_mfma_f32_16x16x16_bf16 v[148:151], a[32:33], v[56:57], v[148:151]// 00000000976C: D3E10094 0E527120
	ds_read_b128 a[100:103], v16 offset:512                    // 000000009774: DBFE0200 64000010
	buffer_load_dword v37, v2, s[8:11], 0 idxen                // 00000000977C: E0502000 80022502
	v_mfma_f32_16x16x16_bf16 v[148:151], a[36:37], v[58:59], v[148:151]// 000000009784: D3E10094 0E527524
	v_mfma_f32_16x16x16_bf16 v[148:151], a[40:41], v[60:61], v[148:151]// 00000000978C: D3E10094 0E527928
	ds_read_b128 a[104:107], v16 offset:2176                   // 000000009794: DBFE0880 68000010
	buffer_load_dword v38, v3, s[8:11], 0 idxen                // 00000000979C: E0502000 80022603
	v_mfma_f32_16x16x16_bf16 v[148:151], a[44:45], v[62:63], v[148:151]// 0000000097A4: D3E10094 0E527D2C
	v_perm_b32 v100, v41, v40, s63                             // 0000000097AC: D1ED0064 00FE5129
	v_perm_b32 v101, v41, v40, s64                             // 0000000097B4: D1ED0065 01025129
	v_mfma_f32_16x16x16_bf16 v[148:151], a[48:49], v[64:65], v[148:151]// 0000000097BC: D3E10094 0E528130
	ds_read_b128 a[108:111], v16 offset:2688                   // 0000000097C4: DBFE0A80 6C000010
	buffer_load_dword v39, v4, s[8:11], 0 idxen                // 0000000097CC: E0502000 80022704
	v_mfma_f32_16x16x16_bf16 v[148:151], a[52:53], v[66:67], v[148:151]// 0000000097D4: D3E10094 0E528534
	v_perm_b32 v102, v43, v42, s63                             // 0000000097DC: D1ED0066 00FE552B
	v_perm_b32 v103, v43, v42, s64                             // 0000000097E4: D1ED0067 0102552B
	v_mfma_f32_16x16x16_bf16 v[148:151], a[56:57], v[68:69], v[148:151]// 0000000097EC: D3E10094 0E528938
	ds_read_b128 v[108:111], v16 offset:8704                   // 0000000097F4: D9FE2200 6C000010
	buffer_load_dword v44, v1, s[20:23], 0 idxen               // 0000000097FC: E0502000 80052C01
	v_mfma_f32_16x16x16_bf16 v[148:151], a[60:61], v[70:71], v[148:151]// 000000009804: D3E10094 0E528D3C
	v_perm_b32 v104, v49, v48, s63                             // 00000000980C: D1ED0068 00FE6131
	v_perm_b32 v105, v49, v48, s64                             // 000000009814: D1ED0069 01026131
	v_mfma_f32_16x16x16_bf16 v[148:151], a[64:65], v[72:73], v[148:151]// 00000000981C: D3E10094 0E529140
	ds_read_b128 v[112:115], v16 offset:9216                   // 000000009824: D9FE2400 70000010
	buffer_load_dword v45, v2, s[20:23], 0 idxen               // 00000000982C: E0502000 80052D02
	v_mfma_f32_16x16x16_bf16 v[148:151], a[68:69], v[74:75], v[148:151]// 000000009834: D3E10094 0E529544
	v_perm_b32 v106, v51, v50, s63                             // 00000000983C: D1ED006A 00FE6533
	v_perm_b32 v107, v51, v50, s64                             // 000000009844: D1ED006B 01026533
	v_mfma_f32_16x16x16_bf16 v[152:155], a[26:27], v[52:53], 0 // 00000000984C: D3E10098 0A02691A
	ds_read_b128 v[116:119], v16 offset:10880                  // 000000009854: D9FE2A80 74000010
	buffer_load_dword v46, v3, s[20:23], 0 idxen               // 00000000985C: E0502000 80052E03
	v_mfma_f32_16x16x16_bf16 v[152:155], a[30:31], v[54:55], v[152:155]// 000000009864: D3E10098 0E626D1E
	v_mov_b32_dpp v143, v140 quad_perm:[3,3,3,3] row_mask:0xf bank_mask:0xf// 00000000986C: 7F1E02FA FF00FF8C
	v_mov_b32_dpp v142, v140 quad_perm:[2,2,2,2] row_mask:0xf bank_mask:0xf// 000000009874: 7F1C02FA FF00AA8C
	v_mov_b32_dpp v141, v140 quad_perm:[1,1,1,1] row_mask:0xf bank_mask:0xf// 00000000987C: 7F1A02FA FF00558C
	v_mov_b32_dpp v140, v140 quad_perm:[0,0,0,0] row_mask:0xf bank_mask:0xf// 000000009884: 7F1802FA FF00008C
	v_mfma_f32_16x16x16_bf16 v[152:155], a[34:35], v[56:57], v[152:155]// 00000000988C: D3E10098 0E627122
	ds_read_b128 v[120:123], v16 offset:11392                  // 000000009894: D9FE2C80 78000010
	buffer_load_dword v47, v4, s[20:23], 0 idxen               // 00000000989C: E0502000 80052F04
	v_mfma_f32_16x16x16_bf16 v[152:155], a[38:39], v[58:59], v[152:155]// 0000000098A4: D3E10098 0E627526
	v_mov_b32_dpp v147, v144 quad_perm:[3,3,3,3] row_mask:0xf bank_mask:0xf// 0000000098AC: 7F2602FA FF00FF90
	v_mov_b32_dpp v146, v144 quad_perm:[2,2,2,2] row_mask:0xf bank_mask:0xf// 0000000098B4: 7F2402FA FF00AA90
	v_mov_b32_dpp v145, v144 quad_perm:[1,1,1,1] row_mask:0xf bank_mask:0xf// 0000000098BC: 7F2202FA FF005590
	v_mov_b32_dpp v144, v144 quad_perm:[0,0,0,0] row_mask:0xf bank_mask:0xf// 0000000098C4: 7F2002FA FF000090
	s_add_u32 s60, 0x80, s59                                   // 0000000098CC: 803C3BFF 00000080
	v_mfma_f32_16x16x16_bf16 v[152:155], a[42:43], v[60:61], v[152:155]// 0000000098D4: D3E10098 0E62792A
	buffer_load_dword v15, s[24:27], 0 idxen lds               // 0000000098DC: E0512000 8006000F
	v_mfma_f32_16x16x16_bf16 v[152:155], a[46:47], v[62:63], v[152:155]// 0000000098E4: D3E10098 0E627D2E
	s_cmp_lt_u32 s60, s58                                      // 0000000098EC: BF0A3A3C
	s_cselect_b32 s68, s68, 0                                  // 0000000098F0: 85448044
	s_cselect_b32 s69, s69, 0                                  // 0000000098F4: 85458045
	v_mfma_f32_16x16x16_bf16 v[152:155], a[50:51], v[64:65], v[152:155]// 0000000098F8: D3E10098 0E628132
	s_add_u32 s8, s68, s8                                      // 000000009900: 80080844
	s_addc_u32 s9, 0, s9                                       // 000000009904: 82090980
	v_mfma_f32_16x16x16_bf16 v[152:155], a[54:55], v[66:67], v[152:155]// 000000009908: D3E10098 0E628536
	s_add_u32 s20, s68, s20                                    // 000000009910: 80141444
	s_addc_u32 s21, 0, s21                                     // 000000009914: 82151580
	v_mfma_f32_16x16x16_bf16 v[152:155], a[58:59], v[68:69], v[152:155]// 000000009918: D3E10098 0E62893A
	s_mov_b32 m0, s77                                          // 000000009920: BEFC004D
	v_add_u32_e32 v15, s69, v15                                // 000000009924: 681E1E45
	v_mfma_f32_16x16x16_bf16 v[152:155], a[62:63], v[70:71], v[152:155]// 000000009928: D3E10098 0E628D3E
	s_cmp_ge_u32 s59, 32                                       // 000000009930: BF09A03B
	s_cselect_b32 s66, s67, s66                                // 000000009934: 85424243
	v_mfma_f32_16x16x16_bf16 v[152:155], a[66:67], v[72:73], v[152:155]// 000000009938: D3E10098 0E629142
	s_addk_i32 s59, 0x20                                       // 000000009940: B73B0020
	s_nop 0                                                    // 000000009944: BF800000
	s_cmp_lt_i32 s59, s58                                      // 000000009948: BF043A3B
	v_mfma_f32_16x16x16_bf16 v[152:155], a[70:71], v[74:75], v[152:155]// 00000000994C: D3E10098 0E629546
	s_cbranch_scc0 label_0DF5                                  // 000000009954: BF84F79F
	s_branch label_0DF8                                        // 000000009958: BF82F7A1

000000000000995c <label_1657>:
	s_add_u32 s32, s66, s32                                    // 00000000995C: 80202042
	s_addc_u32 s33, 0, s33                                     // 000000009960: 82212180
	v_lshrrev_b32_e32 v32, 5, v0                               // 000000009964: 20400085
	v_mul_i32_i24_e32 v31, 0x44, v32                           // 000000009968: 0C3E40FF 00000044
	v_and_b32_e32 v32, 31, v0                                  // 000000009970: 2640009F
	v_mul_i32_i24_e32 v33, 2, v32                              // 000000009974: 0C424082
	v_add_u32_e32 v31, v33, v31                                // 000000009978: 683E3F21
	s_mul_i32 s60, s47, 0x220                                  // 00000000997C: 923CFF2F 00000220
	v_add_u32_e32 v31, s60, v31                                // 000000009984: 683E3E3C
	v_lshlrev_b32_e32 v31, 2, v31                              // 000000009988: 243E3E82
	v_mul_f32_e32 v148, s48, v148                              // 00000000998C: 0B292830
	v_mul_f32_e32 v149, s48, v149                              // 000000009990: 0B2B2A30
	v_mul_f32_e32 v150, s48, v150                              // 000000009994: 0B2D2C30
	v_mul_f32_e32 v151, s48, v151                              // 000000009998: 0B2F2E30
	v_mul_f32_e32 v152, s48, v152                              // 00000000999C: 0B313030
	v_mul_f32_e32 v153, s48, v153                              // 0000000099A0: 0B333230
	v_mul_f32_e32 v154, s48, v154                              // 0000000099A4: 0B353430
	v_mul_f32_e32 v155, s48, v155                              // 0000000099A8: 0B373630
	v_cmp_u_f32_e64 s[74:75], v148, v148                       // 0000000099AC: D048004A 00032994
	v_add3_u32 v226, v148, v229, 1                             // 0000000099B4: D1FF00E2 0207CB94
	v_cndmask_b32_e64 v32, v226, v228, s[74:75]                // 0000000099BC: D1000020 012BC9E2
	v_cmp_u_f32_e64 s[74:75], v149, v149                       // 0000000099C4: D048004A 00032B95
	v_add3_u32 v226, v149, v229, 1                             // 0000000099CC: D1FF00E2 0207CB95
	v_cndmask_b32_e64 v33, v226, v228, s[74:75]                // 0000000099D4: D1000021 012BC9E2
	v_perm_b32 v148, v33, v32, s64                             // 0000000099DC: D1ED0094 01024121
	v_cmp_u_f32_e64 s[74:75], v150, v150                       // 0000000099E4: D048004A 00032D96
	v_add3_u32 v226, v150, v229, 1                             // 0000000099EC: D1FF00E2 0207CB96
	v_cndmask_b32_e64 v32, v226, v228, s[74:75]                // 0000000099F4: D1000020 012BC9E2
	v_cmp_u_f32_e64 s[74:75], v151, v151                       // 0000000099FC: D048004A 00032F97
	v_add3_u32 v226, v151, v229, 1                             // 000000009A04: D1FF00E2 0207CB97
	v_cndmask_b32_e64 v33, v226, v228, s[74:75]                // 000000009A0C: D1000021 012BC9E2
	v_perm_b32 v149, v33, v32, s64                             // 000000009A14: D1ED0095 01024121
	v_cmp_u_f32_e64 s[74:75], v152, v152                       // 000000009A1C: D048004A 00033198
	v_add3_u32 v226, v152, v229, 1                             // 000000009A24: D1FF00E2 0207CB98
	v_cndmask_b32_e64 v32, v226, v228, s[74:75]                // 000000009A2C: D1000020 012BC9E2
	v_cmp_u_f32_e64 s[74:75], v153, v153                       // 000000009A34: D048004A 00033399
	v_add3_u32 v226, v153, v229, 1                             // 000000009A3C: D1FF00E2 0207CB99
	v_cndmask_b32_e64 v33, v226, v228, s[74:75]                // 000000009A44: D1000021 012BC9E2
	v_perm_b32 v150, v33, v32, s64                             // 000000009A4C: D1ED0096 01024121
	v_cmp_u_f32_e64 s[74:75], v154, v154                       // 000000009A54: D048004A 0003359A
	v_add3_u32 v226, v154, v229, 1                             // 000000009A5C: D1FF00E2 0207CB9A
	v_cndmask_b32_e64 v32, v226, v228, s[74:75]                // 000000009A64: D1000020 012BC9E2
	v_cmp_u_f32_e64 s[74:75], v155, v155                       // 000000009A6C: D048004A 0003379B
	v_add3_u32 v226, v155, v229, 1                             // 000000009A74: D1FF00E2 0207CB9B
	v_cndmask_b32_e64 v33, v226, v228, s[74:75]                // 000000009A7C: D1000021 012BC9E2
	v_perm_b32 v151, v33, v32, s64                             // 000000009A84: D1ED0097 01024121
	ds_write_b64 v26, v[148:149] offset:31232                  // 000000009A8C: D89A7A00 0000941A
	ds_write_b64 v26, v[150:151] offset:31776                  // 000000009A94: D89A7C20 0000961A
	s_waitcnt lgkmcnt(0)                                       // 000000009A9C: BF8CC07F
	s_barrier                                                  // 000000009AA0: BF8A0000
	ds_read_b32 v156, v25 offset:31232                         // 000000009AA4: D86C7A00 9C000019
	ds_read_b32 v157, v25 offset:31248                         // 000000009AAC: D86C7A10 9D000019
	ds_read_b32 v158, v25 offset:31264                         // 000000009AB4: D86C7A20 9E000019
	ds_read_b32 v159, v25 offset:31280                         // 000000009ABC: D86C7A30 9F000019
	s_waitcnt lgkmcnt(0)                                       // 000000009AC4: BF8CC07F
	s_barrier                                                  // 000000009AC8: BF8A0000
	global_atomic_pk_add_bf16 v6, v156, s[32:33]               // 000000009ACC: DD488000 00209C06
	global_atomic_pk_add_bf16 v8, v157, s[32:33]               // 000000009AD4: DD488000 00209D08
	global_atomic_pk_add_bf16 v10, v158, s[32:33]              // 000000009ADC: DD488000 00209E0A
	global_atomic_pk_add_bf16 v12, v159, s[32:33]              // 000000009AE4: DD488000 00209F0C
	v_lshrrev_b32_e32 v32, 3, v0                               // 000000009AEC: 20400083
	v_mul_i32_i24_e32 v30, 2, v32                              // 000000009AF0: 0C3C4082
	v_and_b32_e32 v32, 7, v0                                   // 000000009AF4: 26400087
	v_mul_i32_i24_e32 v33, 0x44, v32                           // 000000009AF8: 0C4240FF 00000044
	v_add_u32_e32 v30, v33, v30                                // 000000009B00: 683C3D21
	s_mul_i32 s60, s47, 0x220                                  // 000000009B04: 923CFF2F 00000220
	v_add_u32_e32 v30, s60, v30                                // 000000009B0C: 683C3C3C
	v_lshlrev_b32_e32 v30, 2, v30                              // 000000009B10: 243C3C82
	v_accvgpr_read_b32 v34, a112                               // 000000009B14: D3D84022 18000170
	v_accvgpr_read_b32 v35, a113                               // 000000009B1C: D3D84023 18000171
	v_mul_f32_e32 v34, s48, v34                                // 000000009B24: 0A444430
	v_mul_f32_e32 v35, s48, v35                                // 000000009B28: 0A464630
	v_cmp_u_f32_e64 s[74:75], v34, v34                         // 000000009B2C: D048004A 00024522
	v_bfe_u32 v226, v34, 16, 1                                 // 000000009B34: D1C800E2 02052122
	v_add3_u32 v226, v34, v226, v229                           // 000000009B3C: D1FF00E2 0797C522
	v_cndmask_b32_e64 v32, v226, v228, s[74:75]                // 000000009B44: D1000020 012BC9E2
	v_lshrrev_b32_e32 v32, 16, v32                             // 000000009B4C: 20404090
	v_cmp_u_f32_e64 s[74:75], v35, v35                         // 000000009B50: D048004A 00024723
	v_bfe_u32 v226, v35, 16, 1                                 // 000000009B58: D1C800E2 02052123
	v_add3_u32 v226, v35, v226, v229                           // 000000009B60: D1FF00E2 0797C523
	v_cndmask_b32_e64 v33, v226, v228, s[74:75]                // 000000009B68: D1000021 012BC9E2
	v_and_or_b32 v52, v33, v227, v32                           // 000000009B70: D2010034 0483C721
	v_accvgpr_read_b32 v34, a114                               // 000000009B78: D3D84022 18000172
	v_accvgpr_read_b32 v35, a115                               // 000000009B80: D3D84023 18000173
	v_mul_f32_e32 v34, s48, v34                                // 000000009B88: 0A444430
	v_mul_f32_e32 v35, s48, v35                                // 000000009B8C: 0A464630
	v_cmp_u_f32_e64 s[74:75], v34, v34                         // 000000009B90: D048004A 00024522
	v_bfe_u32 v226, v34, 16, 1                                 // 000000009B98: D1C800E2 02052122
	v_add3_u32 v226, v34, v226, v229                           // 000000009BA0: D1FF00E2 0797C522
	v_cndmask_b32_e64 v32, v226, v228, s[74:75]                // 000000009BA8: D1000020 012BC9E2
	v_lshrrev_b32_e32 v32, 16, v32                             // 000000009BB0: 20404090
	v_cmp_u_f32_e64 s[74:75], v35, v35                         // 000000009BB4: D048004A 00024723
	v_bfe_u32 v226, v35, 16, 1                                 // 000000009BBC: D1C800E2 02052123
	v_add3_u32 v226, v35, v226, v229                           // 000000009BC4: D1FF00E2 0797C523
	v_cndmask_b32_e64 v33, v226, v228, s[74:75]                // 000000009BCC: D1000021 012BC9E2
	v_and_or_b32 v53, v33, v227, v32                           // 000000009BD4: D2010035 0483C721
	v_accvgpr_read_b32 v34, a116                               // 000000009BDC: D3D84022 18000174
	v_accvgpr_read_b32 v35, a117                               // 000000009BE4: D3D84023 18000175
	v_mul_f32_e32 v34, s48, v34                                // 000000009BEC: 0A444430
	v_mul_f32_e32 v35, s48, v35                                // 000000009BF0: 0A464630
	v_cmp_u_f32_e64 s[74:75], v34, v34                         // 000000009BF4: D048004A 00024522
	v_bfe_u32 v226, v34, 16, 1                                 // 000000009BFC: D1C800E2 02052122
	v_add3_u32 v226, v34, v226, v229                           // 000000009C04: D1FF00E2 0797C522
	v_cndmask_b32_e64 v32, v226, v228, s[74:75]                // 000000009C0C: D1000020 012BC9E2
	v_lshrrev_b32_e32 v32, 16, v32                             // 000000009C14: 20404090
	v_cmp_u_f32_e64 s[74:75], v35, v35                         // 000000009C18: D048004A 00024723
	v_bfe_u32 v226, v35, 16, 1                                 // 000000009C20: D1C800E2 02052123
	v_add3_u32 v226, v35, v226, v229                           // 000000009C28: D1FF00E2 0797C523
	v_cndmask_b32_e64 v33, v226, v228, s[74:75]                // 000000009C30: D1000021 012BC9E2
	v_and_or_b32 v54, v33, v227, v32                           // 000000009C38: D2010036 0483C721
	v_accvgpr_read_b32 v34, a118                               // 000000009C40: D3D84022 18000176
	v_accvgpr_read_b32 v35, a119                               // 000000009C48: D3D84023 18000177
	v_mul_f32_e32 v34, s48, v34                                // 000000009C50: 0A444430
	v_mul_f32_e32 v35, s48, v35                                // 000000009C54: 0A464630
	v_cmp_u_f32_e64 s[74:75], v34, v34                         // 000000009C58: D048004A 00024522
	v_bfe_u32 v226, v34, 16, 1                                 // 000000009C60: D1C800E2 02052122
	v_add3_u32 v226, v34, v226, v229                           // 000000009C68: D1FF00E2 0797C522
	v_cndmask_b32_e64 v32, v226, v228, s[74:75]                // 000000009C70: D1000020 012BC9E2
	v_lshrrev_b32_e32 v32, 16, v32                             // 000000009C78: 20404090
	v_cmp_u_f32_e64 s[74:75], v35, v35                         // 000000009C7C: D048004A 00024723
	v_bfe_u32 v226, v35, 16, 1                                 // 000000009C84: D1C800E2 02052123
	v_add3_u32 v226, v35, v226, v229                           // 000000009C8C: D1FF00E2 0797C523
	v_cndmask_b32_e64 v33, v226, v228, s[74:75]                // 000000009C94: D1000021 012BC9E2
	v_and_or_b32 v55, v33, v227, v32                           // 000000009C9C: D2010037 0483C721
	v_accvgpr_read_b32 v34, a120                               // 000000009CA4: D3D84022 18000178
	v_accvgpr_read_b32 v35, a121                               // 000000009CAC: D3D84023 18000179
	v_mul_f32_e32 v34, s48, v34                                // 000000009CB4: 0A444430
	v_mul_f32_e32 v35, s48, v35                                // 000000009CB8: 0A464630
	v_cmp_u_f32_e64 s[74:75], v34, v34                         // 000000009CBC: D048004A 00024522
	v_bfe_u32 v226, v34, 16, 1                                 // 000000009CC4: D1C800E2 02052122
	v_add3_u32 v226, v34, v226, v229                           // 000000009CCC: D1FF00E2 0797C522
	v_cndmask_b32_e64 v32, v226, v228, s[74:75]                // 000000009CD4: D1000020 012BC9E2
	v_lshrrev_b32_e32 v32, 16, v32                             // 000000009CDC: 20404090
	v_cmp_u_f32_e64 s[74:75], v35, v35                         // 000000009CE0: D048004A 00024723
	v_bfe_u32 v226, v35, 16, 1                                 // 000000009CE8: D1C800E2 02052123
	v_add3_u32 v226, v35, v226, v229                           // 000000009CF0: D1FF00E2 0797C523
	v_cndmask_b32_e64 v33, v226, v228, s[74:75]                // 000000009CF8: D1000021 012BC9E2
	v_and_or_b32 v56, v33, v227, v32                           // 000000009D00: D2010038 0483C721
	v_accvgpr_read_b32 v34, a122                               // 000000009D08: D3D84022 1800017A
	v_accvgpr_read_b32 v35, a123                               // 000000009D10: D3D84023 1800017B
	v_mul_f32_e32 v34, s48, v34                                // 000000009D18: 0A444430
	v_mul_f32_e32 v35, s48, v35                                // 000000009D1C: 0A464630
	v_cmp_u_f32_e64 s[74:75], v34, v34                         // 000000009D20: D048004A 00024522
	v_bfe_u32 v226, v34, 16, 1                                 // 000000009D28: D1C800E2 02052122
	v_add3_u32 v226, v34, v226, v229                           // 000000009D30: D1FF00E2 0797C522
	v_cndmask_b32_e64 v32, v226, v228, s[74:75]                // 000000009D38: D1000020 012BC9E2
	v_lshrrev_b32_e32 v32, 16, v32                             // 000000009D40: 20404090
	v_cmp_u_f32_e64 s[74:75], v35, v35                         // 000000009D44: D048004A 00024723
	v_bfe_u32 v226, v35, 16, 1                                 // 000000009D4C: D1C800E2 02052123
	v_add3_u32 v226, v35, v226, v229                           // 000000009D54: D1FF00E2 0797C523
	v_cndmask_b32_e64 v33, v226, v228, s[74:75]                // 000000009D5C: D1000021 012BC9E2
	v_and_or_b32 v57, v33, v227, v32                           // 000000009D64: D2010039 0483C721
	v_accvgpr_read_b32 v34, a124                               // 000000009D6C: D3D84022 1800017C
	v_accvgpr_read_b32 v35, a125                               // 000000009D74: D3D84023 1800017D
	v_mul_f32_e32 v34, s48, v34                                // 000000009D7C: 0A444430
	v_mul_f32_e32 v35, s48, v35                                // 000000009D80: 0A464630
	v_cmp_u_f32_e64 s[74:75], v34, v34                         // 000000009D84: D048004A 00024522
	v_bfe_u32 v226, v34, 16, 1                                 // 000000009D8C: D1C800E2 02052122
	v_add3_u32 v226, v34, v226, v229                           // 000000009D94: D1FF00E2 0797C522
	v_cndmask_b32_e64 v32, v226, v228, s[74:75]                // 000000009D9C: D1000020 012BC9E2
	v_lshrrev_b32_e32 v32, 16, v32                             // 000000009DA4: 20404090
	v_cmp_u_f32_e64 s[74:75], v35, v35                         // 000000009DA8: D048004A 00024723
	v_bfe_u32 v226, v35, 16, 1                                 // 000000009DB0: D1C800E2 02052123
	v_add3_u32 v226, v35, v226, v229                           // 000000009DB8: D1FF00E2 0797C523
	v_cndmask_b32_e64 v33, v226, v228, s[74:75]                // 000000009DC0: D1000021 012BC9E2
	v_and_or_b32 v58, v33, v227, v32                           // 000000009DC8: D201003A 0483C721
	v_accvgpr_read_b32 v34, a126                               // 000000009DD0: D3D84022 1800017E
	v_accvgpr_read_b32 v35, a127                               // 000000009DD8: D3D84023 1800017F
	v_mul_f32_e32 v34, s48, v34                                // 000000009DE0: 0A444430
	v_mul_f32_e32 v35, s48, v35                                // 000000009DE4: 0A464630
	v_cmp_u_f32_e64 s[74:75], v34, v34                         // 000000009DE8: D048004A 00024522
	v_bfe_u32 v226, v34, 16, 1                                 // 000000009DF0: D1C800E2 02052122
	v_add3_u32 v226, v34, v226, v229                           // 000000009DF8: D1FF00E2 0797C522
	v_cndmask_b32_e64 v32, v226, v228, s[74:75]                // 000000009E00: D1000020 012BC9E2
	v_lshrrev_b32_e32 v32, 16, v32                             // 000000009E08: 20404090
	v_cmp_u_f32_e64 s[74:75], v35, v35                         // 000000009E0C: D048004A 00024723
	v_bfe_u32 v226, v35, 16, 1                                 // 000000009E14: D1C800E2 02052123
	v_add3_u32 v226, v35, v226, v229                           // 000000009E1C: D1FF00E2 0797C523
	v_cndmask_b32_e64 v33, v226, v228, s[74:75]                // 000000009E24: D1000021 012BC9E2
	v_and_or_b32 v59, v33, v227, v32                           // 000000009E2C: D201003B 0483C721
	ds_write_b64 v31, v[52:53]                                 // 000000009E34: D89A0000 0000341F
	ds_write_b64 v31, v[54:55] offset:544                      // 000000009E3C: D89A0220 0000361F
	ds_write_b64 v31, v[56:57] offset:1088                     // 000000009E44: D89A0440 0000381F
	ds_write_b64 v31, v[58:59] offset:1632                     // 000000009E4C: D89A0660 00003A1F
	s_waitcnt lgkmcnt(0)                                       // 000000009E54: BF8CC07F
	s_barrier                                                  // 000000009E58: BF8A0000
	ds_read_b64 v[52:53], v30                                  // 000000009E5C: D8EC0000 3400001E
	ds_read_b64 v[54:55], v30 offset:128                       // 000000009E64: D8EC0080 3600001E
	ds_read_b64 v[56:57], v30 offset:64                        // 000000009E6C: D8EC0040 3800001E
	ds_read_b64 v[58:59], v30 offset:192                       // 000000009E74: D8EC00C0 3A00001E
	s_waitcnt lgkmcnt(0)                                       // 000000009E7C: BF8CC07F
	buffer_store_dwordx4 v[52:55], v5, s[36:39], 0 idxen       // 000000009E80: E07C2000 80093405
	s_mul_i32 s60, 2, s46                                      // 000000009E88: 923C2E82
	v_add_u32_e32 v5, s60, v5                                  // 000000009E8C: 680A0A3C
	buffer_store_dwordx4 v[56:59], v5, s[36:39], 0 idxen       // 000000009E90: E07C2000 80093805
	s_mul_i32 s60, 2, s46                                      // 000000009E98: 923C2E82
	v_add_u32_e32 v5, s60, v5                                  // 000000009E9C: 680A0A3C
	s_mul_i32 s60, 12, s46                                     // 000000009EA0: 923C2E8C
	v_add_u32_e32 v5, s60, v5                                  // 000000009EA4: 680A0A3C
	s_barrier                                                  // 000000009EA8: BF8A0000
	s_cmp_ge_i32 1, s73                                        // 000000009EAC: BF034981
	s_cbranch_scc1 label_197D                                  // 000000009EB0: BF8501D0
	v_accvgpr_read_b32 v34, a128                               // 000000009EB4: D3D84022 18000180
	v_accvgpr_read_b32 v35, a129                               // 000000009EBC: D3D84023 18000181
	v_mul_f32_e32 v34, s48, v34                                // 000000009EC4: 0A444430
	v_mul_f32_e32 v35, s48, v35                                // 000000009EC8: 0A464630
	v_cmp_u_f32_e64 s[74:75], v34, v34                         // 000000009ECC: D048004A 00024522
	v_bfe_u32 v226, v34, 16, 1                                 // 000000009ED4: D1C800E2 02052122
	v_add3_u32 v226, v34, v226, v229                           // 000000009EDC: D1FF00E2 0797C522
	v_cndmask_b32_e64 v32, v226, v228, s[74:75]                // 000000009EE4: D1000020 012BC9E2
	v_lshrrev_b32_e32 v32, 16, v32                             // 000000009EEC: 20404090
	v_cmp_u_f32_e64 s[74:75], v35, v35                         // 000000009EF0: D048004A 00024723
	v_bfe_u32 v226, v35, 16, 1                                 // 000000009EF8: D1C800E2 02052123
	v_add3_u32 v226, v35, v226, v229                           // 000000009F00: D1FF00E2 0797C523
	v_cndmask_b32_e64 v33, v226, v228, s[74:75]                // 000000009F08: D1000021 012BC9E2
	v_and_or_b32 v60, v33, v227, v32                           // 000000009F10: D201003C 0483C721
	v_accvgpr_read_b32 v34, a130                               // 000000009F18: D3D84022 18000182
	v_accvgpr_read_b32 v35, a131                               // 000000009F20: D3D84023 18000183
	v_mul_f32_e32 v34, s48, v34                                // 000000009F28: 0A444430
	v_mul_f32_e32 v35, s48, v35                                // 000000009F2C: 0A464630
	v_cmp_u_f32_e64 s[74:75], v34, v34                         // 000000009F30: D048004A 00024522
	v_bfe_u32 v226, v34, 16, 1                                 // 000000009F38: D1C800E2 02052122
	v_add3_u32 v226, v34, v226, v229                           // 000000009F40: D1FF00E2 0797C522
	v_cndmask_b32_e64 v32, v226, v228, s[74:75]                // 000000009F48: D1000020 012BC9E2
	v_lshrrev_b32_e32 v32, 16, v32                             // 000000009F50: 20404090
	v_cmp_u_f32_e64 s[74:75], v35, v35                         // 000000009F54: D048004A 00024723
	v_bfe_u32 v226, v35, 16, 1                                 // 000000009F5C: D1C800E2 02052123
	v_add3_u32 v226, v35, v226, v229                           // 000000009F64: D1FF00E2 0797C523
	v_cndmask_b32_e64 v33, v226, v228, s[74:75]                // 000000009F6C: D1000021 012BC9E2
	v_and_or_b32 v61, v33, v227, v32                           // 000000009F74: D201003D 0483C721
	v_accvgpr_read_b32 v34, a132                               // 000000009F7C: D3D84022 18000184
	v_accvgpr_read_b32 v35, a133                               // 000000009F84: D3D84023 18000185
	v_mul_f32_e32 v34, s48, v34                                // 000000009F8C: 0A444430
	v_mul_f32_e32 v35, s48, v35                                // 000000009F90: 0A464630
	v_cmp_u_f32_e64 s[74:75], v34, v34                         // 000000009F94: D048004A 00024522
	v_bfe_u32 v226, v34, 16, 1                                 // 000000009F9C: D1C800E2 02052122
	v_add3_u32 v226, v34, v226, v229                           // 000000009FA4: D1FF00E2 0797C522
	v_cndmask_b32_e64 v32, v226, v228, s[74:75]                // 000000009FAC: D1000020 012BC9E2
	v_lshrrev_b32_e32 v32, 16, v32                             // 000000009FB4: 20404090
	v_cmp_u_f32_e64 s[74:75], v35, v35                         // 000000009FB8: D048004A 00024723
	v_bfe_u32 v226, v35, 16, 1                                 // 000000009FC0: D1C800E2 02052123
	v_add3_u32 v226, v35, v226, v229                           // 000000009FC8: D1FF00E2 0797C523
	v_cndmask_b32_e64 v33, v226, v228, s[74:75]                // 000000009FD0: D1000021 012BC9E2
	v_and_or_b32 v62, v33, v227, v32                           // 000000009FD8: D201003E 0483C721
	v_accvgpr_read_b32 v34, a134                               // 000000009FE0: D3D84022 18000186
	v_accvgpr_read_b32 v35, a135                               // 000000009FE8: D3D84023 18000187
	v_mul_f32_e32 v34, s48, v34                                // 000000009FF0: 0A444430
	v_mul_f32_e32 v35, s48, v35                                // 000000009FF4: 0A464630
	v_cmp_u_f32_e64 s[74:75], v34, v34                         // 000000009FF8: D048004A 00024522
	v_bfe_u32 v226, v34, 16, 1                                 // 00000000A000: D1C800E2 02052122
	v_add3_u32 v226, v34, v226, v229                           // 00000000A008: D1FF00E2 0797C522
	v_cndmask_b32_e64 v32, v226, v228, s[74:75]                // 00000000A010: D1000020 012BC9E2
	v_lshrrev_b32_e32 v32, 16, v32                             // 00000000A018: 20404090
	v_cmp_u_f32_e64 s[74:75], v35, v35                         // 00000000A01C: D048004A 00024723
	v_bfe_u32 v226, v35, 16, 1                                 // 00000000A024: D1C800E2 02052123
	v_add3_u32 v226, v35, v226, v229                           // 00000000A02C: D1FF00E2 0797C523
	v_cndmask_b32_e64 v33, v226, v228, s[74:75]                // 00000000A034: D1000021 012BC9E2
	v_and_or_b32 v63, v33, v227, v32                           // 00000000A03C: D201003F 0483C721
	v_accvgpr_read_b32 v34, a136                               // 00000000A044: D3D84022 18000188
	v_accvgpr_read_b32 v35, a137                               // 00000000A04C: D3D84023 18000189
	v_mul_f32_e32 v34, s48, v34                                // 00000000A054: 0A444430
	v_mul_f32_e32 v35, s48, v35                                // 00000000A058: 0A464630
	v_cmp_u_f32_e64 s[74:75], v34, v34                         // 00000000A05C: D048004A 00024522
	v_bfe_u32 v226, v34, 16, 1                                 // 00000000A064: D1C800E2 02052122
	v_add3_u32 v226, v34, v226, v229                           // 00000000A06C: D1FF00E2 0797C522
	v_cndmask_b32_e64 v32, v226, v228, s[74:75]                // 00000000A074: D1000020 012BC9E2
	v_lshrrev_b32_e32 v32, 16, v32                             // 00000000A07C: 20404090
	v_cmp_u_f32_e64 s[74:75], v35, v35                         // 00000000A080: D048004A 00024723
	v_bfe_u32 v226, v35, 16, 1                                 // 00000000A088: D1C800E2 02052123
	v_add3_u32 v226, v35, v226, v229                           // 00000000A090: D1FF00E2 0797C523
	v_cndmask_b32_e64 v33, v226, v228, s[74:75]                // 00000000A098: D1000021 012BC9E2
	v_and_or_b32 v64, v33, v227, v32                           // 00000000A0A0: D2010040 0483C721
	v_accvgpr_read_b32 v34, a138                               // 00000000A0A8: D3D84022 1800018A
	v_accvgpr_read_b32 v35, a139                               // 00000000A0B0: D3D84023 1800018B
	v_mul_f32_e32 v34, s48, v34                                // 00000000A0B8: 0A444430
	v_mul_f32_e32 v35, s48, v35                                // 00000000A0BC: 0A464630
	v_cmp_u_f32_e64 s[74:75], v34, v34                         // 00000000A0C0: D048004A 00024522
	v_bfe_u32 v226, v34, 16, 1                                 // 00000000A0C8: D1C800E2 02052122
	v_add3_u32 v226, v34, v226, v229                           // 00000000A0D0: D1FF00E2 0797C522
	v_cndmask_b32_e64 v32, v226, v228, s[74:75]                // 00000000A0D8: D1000020 012BC9E2
	v_lshrrev_b32_e32 v32, 16, v32                             // 00000000A0E0: 20404090
	v_cmp_u_f32_e64 s[74:75], v35, v35                         // 00000000A0E4: D048004A 00024723
	v_bfe_u32 v226, v35, 16, 1                                 // 00000000A0EC: D1C800E2 02052123
	v_add3_u32 v226, v35, v226, v229                           // 00000000A0F4: D1FF00E2 0797C523
	v_cndmask_b32_e64 v33, v226, v228, s[74:75]                // 00000000A0FC: D1000021 012BC9E2
	v_and_or_b32 v65, v33, v227, v32                           // 00000000A104: D2010041 0483C721
	v_accvgpr_read_b32 v34, a140                               // 00000000A10C: D3D84022 1800018C
	v_accvgpr_read_b32 v35, a141                               // 00000000A114: D3D84023 1800018D
	v_mul_f32_e32 v34, s48, v34                                // 00000000A11C: 0A444430
	v_mul_f32_e32 v35, s48, v35                                // 00000000A120: 0A464630
	v_cmp_u_f32_e64 s[74:75], v34, v34                         // 00000000A124: D048004A 00024522
	v_bfe_u32 v226, v34, 16, 1                                 // 00000000A12C: D1C800E2 02052122
	v_add3_u32 v226, v34, v226, v229                           // 00000000A134: D1FF00E2 0797C522
	v_cndmask_b32_e64 v32, v226, v228, s[74:75]                // 00000000A13C: D1000020 012BC9E2
	v_lshrrev_b32_e32 v32, 16, v32                             // 00000000A144: 20404090
	v_cmp_u_f32_e64 s[74:75], v35, v35                         // 00000000A148: D048004A 00024723
	v_bfe_u32 v226, v35, 16, 1                                 // 00000000A150: D1C800E2 02052123
	v_add3_u32 v226, v35, v226, v229                           // 00000000A158: D1FF00E2 0797C523
	v_cndmask_b32_e64 v33, v226, v228, s[74:75]                // 00000000A160: D1000021 012BC9E2
	v_and_or_b32 v66, v33, v227, v32                           // 00000000A168: D2010042 0483C721
	v_accvgpr_read_b32 v34, a142                               // 00000000A170: D3D84022 1800018E
	v_accvgpr_read_b32 v35, a143                               // 00000000A178: D3D84023 1800018F
	v_mul_f32_e32 v34, s48, v34                                // 00000000A180: 0A444430
	v_mul_f32_e32 v35, s48, v35                                // 00000000A184: 0A464630
	v_cmp_u_f32_e64 s[74:75], v34, v34                         // 00000000A188: D048004A 00024522
	v_bfe_u32 v226, v34, 16, 1                                 // 00000000A190: D1C800E2 02052122
	v_add3_u32 v226, v34, v226, v229                           // 00000000A198: D1FF00E2 0797C522
	v_cndmask_b32_e64 v32, v226, v228, s[74:75]                // 00000000A1A0: D1000020 012BC9E2
	v_lshrrev_b32_e32 v32, 16, v32                             // 00000000A1A8: 20404090
	v_cmp_u_f32_e64 s[74:75], v35, v35                         // 00000000A1AC: D048004A 00024723
	v_bfe_u32 v226, v35, 16, 1                                 // 00000000A1B4: D1C800E2 02052123
	v_add3_u32 v226, v35, v226, v229                           // 00000000A1BC: D1FF00E2 0797C523
	v_cndmask_b32_e64 v33, v226, v228, s[74:75]                // 00000000A1C4: D1000021 012BC9E2
	v_and_or_b32 v67, v33, v227, v32                           // 00000000A1CC: D2010043 0483C721
	ds_write_b64 v31, v[60:61] offset:8704                     // 00000000A1D4: D89A2200 00003C1F
	ds_write_b64 v31, v[62:63] offset:9248                     // 00000000A1DC: D89A2420 00003E1F
	ds_write_b64 v31, v[64:65] offset:9792                     // 00000000A1E4: D89A2640 0000401F
	ds_write_b64 v31, v[66:67] offset:10336                    // 00000000A1EC: D89A2860 0000421F
	s_waitcnt lgkmcnt(0)                                       // 00000000A1F4: BF8CC07F
	s_barrier                                                  // 00000000A1F8: BF8A0000
	ds_read_b64 v[60:61], v30 offset:8704                      // 00000000A1FC: D8EC2200 3C00001E
	ds_read_b64 v[62:63], v30 offset:8832                      // 00000000A204: D8EC2280 3E00001E
	ds_read_b64 v[64:65], v30 offset:8768                      // 00000000A20C: D8EC2240 4000001E
	ds_read_b64 v[66:67], v30 offset:8896                      // 00000000A214: D8EC22C0 4200001E
	s_waitcnt lgkmcnt(0)                                       // 00000000A21C: BF8CC07F
	buffer_store_dwordx4 v[60:63], v5, s[36:39], 0 idxen       // 00000000A220: E07C2000 80093C05
	s_mul_i32 s60, 2, s46                                      // 00000000A228: 923C2E82
	v_add_u32_e32 v5, s60, v5                                  // 00000000A22C: 680A0A3C
	buffer_store_dwordx4 v[64:67], v5, s[36:39], 0 idxen       // 00000000A230: E07C2000 80094005
	s_mul_i32 s60, 2, s46                                      // 00000000A238: 923C2E82
	v_add_u32_e32 v5, s60, v5                                  // 00000000A23C: 680A0A3C
	s_mul_i32 s60, 12, s46                                     // 00000000A240: 923C2E8C
	v_add_u32_e32 v5, s60, v5                                  // 00000000A244: 680A0A3C
	s_barrier                                                  // 00000000A248: BF8A0000
	s_cmp_ge_i32 2, s73                                        // 00000000A24C: BF034982
	s_cbranch_scc1 label_197D                                  // 00000000A250: BF8500E8
	v_accvgpr_read_b32 v34, a144                               // 00000000A254: D3D84022 18000190
	v_accvgpr_read_b32 v35, a145                               // 00000000A25C: D3D84023 18000191
	v_mul_f32_e32 v34, s48, v34                                // 00000000A264: 0A444430
	v_mul_f32_e32 v35, s48, v35                                // 00000000A268: 0A464630
	v_cmp_u_f32_e64 s[74:75], v34, v34                         // 00000000A26C: D048004A 00024522
	v_bfe_u32 v226, v34, 16, 1                                 // 00000000A274: D1C800E2 02052122
	v_add3_u32 v226, v34, v226, v229                           // 00000000A27C: D1FF00E2 0797C522
	v_cndmask_b32_e64 v32, v226, v228, s[74:75]                // 00000000A284: D1000020 012BC9E2
	v_lshrrev_b32_e32 v32, 16, v32                             // 00000000A28C: 20404090
	v_cmp_u_f32_e64 s[74:75], v35, v35                         // 00000000A290: D048004A 00024723
	v_bfe_u32 v226, v35, 16, 1                                 // 00000000A298: D1C800E2 02052123
	v_add3_u32 v226, v35, v226, v229                           // 00000000A2A0: D1FF00E2 0797C523
	v_cndmask_b32_e64 v33, v226, v228, s[74:75]                // 00000000A2A8: D1000021 012BC9E2
	v_and_or_b32 v68, v33, v227, v32                           // 00000000A2B0: D2010044 0483C721
	v_accvgpr_read_b32 v34, a146                               // 00000000A2B8: D3D84022 18000192
	v_accvgpr_read_b32 v35, a147                               // 00000000A2C0: D3D84023 18000193
	v_mul_f32_e32 v34, s48, v34                                // 00000000A2C8: 0A444430
	v_mul_f32_e32 v35, s48, v35                                // 00000000A2CC: 0A464630
	v_cmp_u_f32_e64 s[74:75], v34, v34                         // 00000000A2D0: D048004A 00024522
	v_bfe_u32 v226, v34, 16, 1                                 // 00000000A2D8: D1C800E2 02052122
	v_add3_u32 v226, v34, v226, v229                           // 00000000A2E0: D1FF00E2 0797C522
	v_cndmask_b32_e64 v32, v226, v228, s[74:75]                // 00000000A2E8: D1000020 012BC9E2
	v_lshrrev_b32_e32 v32, 16, v32                             // 00000000A2F0: 20404090
	v_cmp_u_f32_e64 s[74:75], v35, v35                         // 00000000A2F4: D048004A 00024723
	v_bfe_u32 v226, v35, 16, 1                                 // 00000000A2FC: D1C800E2 02052123
	v_add3_u32 v226, v35, v226, v229                           // 00000000A304: D1FF00E2 0797C523
	v_cndmask_b32_e64 v33, v226, v228, s[74:75]                // 00000000A30C: D1000021 012BC9E2
	v_and_or_b32 v69, v33, v227, v32                           // 00000000A314: D2010045 0483C721
	v_accvgpr_read_b32 v34, a148                               // 00000000A31C: D3D84022 18000194
	v_accvgpr_read_b32 v35, a149                               // 00000000A324: D3D84023 18000195
	v_mul_f32_e32 v34, s48, v34                                // 00000000A32C: 0A444430
	v_mul_f32_e32 v35, s48, v35                                // 00000000A330: 0A464630
	v_cmp_u_f32_e64 s[74:75], v34, v34                         // 00000000A334: D048004A 00024522
	v_bfe_u32 v226, v34, 16, 1                                 // 00000000A33C: D1C800E2 02052122
	v_add3_u32 v226, v34, v226, v229                           // 00000000A344: D1FF00E2 0797C522
	v_cndmask_b32_e64 v32, v226, v228, s[74:75]                // 00000000A34C: D1000020 012BC9E2
	v_lshrrev_b32_e32 v32, 16, v32                             // 00000000A354: 20404090
	v_cmp_u_f32_e64 s[74:75], v35, v35                         // 00000000A358: D048004A 00024723
	v_bfe_u32 v226, v35, 16, 1                                 // 00000000A360: D1C800E2 02052123
	v_add3_u32 v226, v35, v226, v229                           // 00000000A368: D1FF00E2 0797C523
	v_cndmask_b32_e64 v33, v226, v228, s[74:75]                // 00000000A370: D1000021 012BC9E2
	v_and_or_b32 v70, v33, v227, v32                           // 00000000A378: D2010046 0483C721
	v_accvgpr_read_b32 v34, a150                               // 00000000A380: D3D84022 18000196
	v_accvgpr_read_b32 v35, a151                               // 00000000A388: D3D84023 18000197
	v_mul_f32_e32 v34, s48, v34                                // 00000000A390: 0A444430
	v_mul_f32_e32 v35, s48, v35                                // 00000000A394: 0A464630
	v_cmp_u_f32_e64 s[74:75], v34, v34                         // 00000000A398: D048004A 00024522
	v_bfe_u32 v226, v34, 16, 1                                 // 00000000A3A0: D1C800E2 02052122
	v_add3_u32 v226, v34, v226, v229                           // 00000000A3A8: D1FF00E2 0797C522
	v_cndmask_b32_e64 v32, v226, v228, s[74:75]                // 00000000A3B0: D1000020 012BC9E2
	v_lshrrev_b32_e32 v32, 16, v32                             // 00000000A3B8: 20404090
	v_cmp_u_f32_e64 s[74:75], v35, v35                         // 00000000A3BC: D048004A 00024723
	v_bfe_u32 v226, v35, 16, 1                                 // 00000000A3C4: D1C800E2 02052123
	v_add3_u32 v226, v35, v226, v229                           // 00000000A3CC: D1FF00E2 0797C523
	v_cndmask_b32_e64 v33, v226, v228, s[74:75]                // 00000000A3D4: D1000021 012BC9E2
	v_and_or_b32 v71, v33, v227, v32                           // 00000000A3DC: D2010047 0483C721
	v_accvgpr_read_b32 v34, a152                               // 00000000A3E4: D3D84022 18000198
	v_accvgpr_read_b32 v35, a153                               // 00000000A3EC: D3D84023 18000199
	v_mul_f32_e32 v34, s48, v34                                // 00000000A3F4: 0A444430
	v_mul_f32_e32 v35, s48, v35                                // 00000000A3F8: 0A464630
	v_cmp_u_f32_e64 s[74:75], v34, v34                         // 00000000A3FC: D048004A 00024522
	v_bfe_u32 v226, v34, 16, 1                                 // 00000000A404: D1C800E2 02052122
	v_add3_u32 v226, v34, v226, v229                           // 00000000A40C: D1FF00E2 0797C522
	v_cndmask_b32_e64 v32, v226, v228, s[74:75]                // 00000000A414: D1000020 012BC9E2
	v_lshrrev_b32_e32 v32, 16, v32                             // 00000000A41C: 20404090
	v_cmp_u_f32_e64 s[74:75], v35, v35                         // 00000000A420: D048004A 00024723
	v_bfe_u32 v226, v35, 16, 1                                 // 00000000A428: D1C800E2 02052123
	v_add3_u32 v226, v35, v226, v229                           // 00000000A430: D1FF00E2 0797C523
	v_cndmask_b32_e64 v33, v226, v228, s[74:75]                // 00000000A438: D1000021 012BC9E2
	v_and_or_b32 v72, v33, v227, v32                           // 00000000A440: D2010048 0483C721
	v_accvgpr_read_b32 v34, a154                               // 00000000A448: D3D84022 1800019A
	v_accvgpr_read_b32 v35, a155                               // 00000000A450: D3D84023 1800019B
	v_mul_f32_e32 v34, s48, v34                                // 00000000A458: 0A444430
	v_mul_f32_e32 v35, s48, v35                                // 00000000A45C: 0A464630
	v_cmp_u_f32_e64 s[74:75], v34, v34                         // 00000000A460: D048004A 00024522
	v_bfe_u32 v226, v34, 16, 1                                 // 00000000A468: D1C800E2 02052122
	v_add3_u32 v226, v34, v226, v229                           // 00000000A470: D1FF00E2 0797C522
	v_cndmask_b32_e64 v32, v226, v228, s[74:75]                // 00000000A478: D1000020 012BC9E2
	v_lshrrev_b32_e32 v32, 16, v32                             // 00000000A480: 20404090
	v_cmp_u_f32_e64 s[74:75], v35, v35                         // 00000000A484: D048004A 00024723
	v_bfe_u32 v226, v35, 16, 1                                 // 00000000A48C: D1C800E2 02052123
	v_add3_u32 v226, v35, v226, v229                           // 00000000A494: D1FF00E2 0797C523
	v_cndmask_b32_e64 v33, v226, v228, s[74:75]                // 00000000A49C: D1000021 012BC9E2
	v_and_or_b32 v73, v33, v227, v32                           // 00000000A4A4: D2010049 0483C721
	v_accvgpr_read_b32 v34, a156                               // 00000000A4AC: D3D84022 1800019C
	v_accvgpr_read_b32 v35, a157                               // 00000000A4B4: D3D84023 1800019D
	v_mul_f32_e32 v34, s48, v34                                // 00000000A4BC: 0A444430
	v_mul_f32_e32 v35, s48, v35                                // 00000000A4C0: 0A464630
	v_cmp_u_f32_e64 s[74:75], v34, v34                         // 00000000A4C4: D048004A 00024522
	v_bfe_u32 v226, v34, 16, 1                                 // 00000000A4CC: D1C800E2 02052122
	v_add3_u32 v226, v34, v226, v229                           // 00000000A4D4: D1FF00E2 0797C522
	v_cndmask_b32_e64 v32, v226, v228, s[74:75]                // 00000000A4DC: D1000020 012BC9E2
	v_lshrrev_b32_e32 v32, 16, v32                             // 00000000A4E4: 20404090
	v_cmp_u_f32_e64 s[74:75], v35, v35                         // 00000000A4E8: D048004A 00024723
	v_bfe_u32 v226, v35, 16, 1                                 // 00000000A4F0: D1C800E2 02052123
	v_add3_u32 v226, v35, v226, v229                           // 00000000A4F8: D1FF00E2 0797C523
	v_cndmask_b32_e64 v33, v226, v228, s[74:75]                // 00000000A500: D1000021 012BC9E2
	v_and_or_b32 v74, v33, v227, v32                           // 00000000A508: D201004A 0483C721
	v_accvgpr_read_b32 v34, a158                               // 00000000A510: D3D84022 1800019E
	v_accvgpr_read_b32 v35, a159                               // 00000000A518: D3D84023 1800019F
	v_mul_f32_e32 v34, s48, v34                                // 00000000A520: 0A444430
	v_mul_f32_e32 v35, s48, v35                                // 00000000A524: 0A464630
	v_cmp_u_f32_e64 s[74:75], v34, v34                         // 00000000A528: D048004A 00024522
	v_bfe_u32 v226, v34, 16, 1                                 // 00000000A530: D1C800E2 02052122
	v_add3_u32 v226, v34, v226, v229                           // 00000000A538: D1FF00E2 0797C522
	v_cndmask_b32_e64 v32, v226, v228, s[74:75]                // 00000000A540: D1000020 012BC9E2
	v_lshrrev_b32_e32 v32, 16, v32                             // 00000000A548: 20404090
	v_cmp_u_f32_e64 s[74:75], v35, v35                         // 00000000A54C: D048004A 00024723
	v_bfe_u32 v226, v35, 16, 1                                 // 00000000A554: D1C800E2 02052123
	v_add3_u32 v226, v35, v226, v229                           // 00000000A55C: D1FF00E2 0797C523
	v_cndmask_b32_e64 v33, v226, v228, s[74:75]                // 00000000A564: D1000021 012BC9E2
	v_and_or_b32 v75, v33, v227, v32                           // 00000000A56C: D201004B 0483C721
	ds_write_b64 v31, v[68:69] offset:17408                    // 00000000A574: D89A4400 0000441F
	ds_write_b64 v31, v[70:71] offset:17952                    // 00000000A57C: D89A4620 0000461F
	ds_write_b64 v31, v[72:73] offset:18496                    // 00000000A584: D89A4840 0000481F
	ds_write_b64 v31, v[74:75] offset:19040                    // 00000000A58C: D89A4A60 00004A1F
	s_waitcnt lgkmcnt(0)                                       // 00000000A594: BF8CC07F
	s_barrier                                                  // 00000000A598: BF8A0000
	ds_read_b64 v[68:69], v30 offset:17408                     // 00000000A59C: D8EC4400 4400001E
	ds_read_b64 v[70:71], v30 offset:17536                     // 00000000A5A4: D8EC4480 4600001E
	ds_read_b64 v[72:73], v30 offset:17472                     // 00000000A5AC: D8EC4440 4800001E
	ds_read_b64 v[74:75], v30 offset:17600                     // 00000000A5B4: D8EC44C0 4A00001E
	s_waitcnt lgkmcnt(0)                                       // 00000000A5BC: BF8CC07F
	buffer_store_dwordx4 v[68:71], v5, s[36:39], 0 idxen       // 00000000A5C0: E07C2000 80094405
	s_mul_i32 s60, 2, s46                                      // 00000000A5C8: 923C2E82
	v_add_u32_e32 v5, s60, v5                                  // 00000000A5CC: 680A0A3C
	buffer_store_dwordx4 v[72:75], v5, s[36:39], 0 idxen       // 00000000A5D0: E07C2000 80094805
	s_mul_i32 s60, 2, s46                                      // 00000000A5D8: 923C2E82
	v_add_u32_e32 v5, s60, v5                                  // 00000000A5DC: 680A0A3C
	s_mul_i32 s60, 12, s46                                     // 00000000A5E0: 923C2E8C
	v_add_u32_e32 v5, s60, v5                                  // 00000000A5E4: 680A0A3C
	s_barrier                                                  // 00000000A5E8: BF8A0000
	s_cmp_ge_i32 3, s73                                        // 00000000A5EC: BF034983
	s_cbranch_scc1 label_197D                                  // 00000000A5F0: BF850000

000000000000a5f4 <label_197D>:
	v_mov_b32_e32 v34, v178                                    // 00000000A5F4: 7E4403B2
	v_mov_b32_e32 v35, v179                                    // 00000000A5F8: 7E4603B3
	v_cmp_u_f32_e64 s[74:75], v34, v34                         // 00000000A5FC: D048004A 00024522
	v_bfe_u32 v226, v34, 16, 1                                 // 00000000A604: D1C800E2 02052122
	v_add3_u32 v226, v34, v226, v229                           // 00000000A60C: D1FF00E2 0797C522
	v_cndmask_b32_e64 v32, v226, v228, s[74:75]                // 00000000A614: D1000020 012BC9E2
	v_lshrrev_b32_e32 v32, 16, v32                             // 00000000A61C: 20404090
	v_cmp_u_f32_e64 s[74:75], v35, v35                         // 00000000A620: D048004A 00024723
	v_bfe_u32 v226, v35, 16, 1                                 // 00000000A628: D1C800E2 02052123
	v_add3_u32 v226, v35, v226, v229                           // 00000000A630: D1FF00E2 0797C523
	v_cndmask_b32_e64 v33, v226, v228, s[74:75]                // 00000000A638: D1000021 012BC9E2
	v_and_or_b32 v178, v33, v227, v32                          // 00000000A640: D20100B2 0483C721
	v_mov_b32_e32 v34, v180                                    // 00000000A648: 7E4403B4
	v_mov_b32_e32 v35, v181                                    // 00000000A64C: 7E4603B5
	v_cmp_u_f32_e64 s[74:75], v34, v34                         // 00000000A650: D048004A 00024522
	v_bfe_u32 v226, v34, 16, 1                                 // 00000000A658: D1C800E2 02052122
	v_add3_u32 v226, v34, v226, v229                           // 00000000A660: D1FF00E2 0797C522
	v_cndmask_b32_e64 v32, v226, v228, s[74:75]                // 00000000A668: D1000020 012BC9E2
	v_lshrrev_b32_e32 v32, 16, v32                             // 00000000A670: 20404090
	v_cmp_u_f32_e64 s[74:75], v35, v35                         // 00000000A674: D048004A 00024723
	v_bfe_u32 v226, v35, 16, 1                                 // 00000000A67C: D1C800E2 02052123
	v_add3_u32 v226, v35, v226, v229                           // 00000000A684: D1FF00E2 0797C523
	v_cndmask_b32_e64 v33, v226, v228, s[74:75]                // 00000000A68C: D1000021 012BC9E2
	v_and_or_b32 v179, v33, v227, v32                          // 00000000A694: D20100B3 0483C721
	v_mov_b32_e32 v34, v182                                    // 00000000A69C: 7E4403B6
	v_mov_b32_e32 v35, v183                                    // 00000000A6A0: 7E4603B7
	v_cmp_u_f32_e64 s[74:75], v34, v34                         // 00000000A6A4: D048004A 00024522
	v_bfe_u32 v226, v34, 16, 1                                 // 00000000A6AC: D1C800E2 02052122
	v_add3_u32 v226, v34, v226, v229                           // 00000000A6B4: D1FF00E2 0797C522
	v_cndmask_b32_e64 v32, v226, v228, s[74:75]                // 00000000A6BC: D1000020 012BC9E2
	v_lshrrev_b32_e32 v32, 16, v32                             // 00000000A6C4: 20404090
	v_cmp_u_f32_e64 s[74:75], v35, v35                         // 00000000A6C8: D048004A 00024723
	v_bfe_u32 v226, v35, 16, 1                                 // 00000000A6D0: D1C800E2 02052123
	v_add3_u32 v226, v35, v226, v229                           // 00000000A6D8: D1FF00E2 0797C523
	v_cndmask_b32_e64 v33, v226, v228, s[74:75]                // 00000000A6E0: D1000021 012BC9E2
	v_and_or_b32 v180, v33, v227, v32                          // 00000000A6E8: D20100B4 0483C721
	v_mov_b32_e32 v34, v184                                    // 00000000A6F0: 7E4403B8
	v_mov_b32_e32 v35, v185                                    // 00000000A6F4: 7E4603B9
	v_cmp_u_f32_e64 s[74:75], v34, v34                         // 00000000A6F8: D048004A 00024522
	v_bfe_u32 v226, v34, 16, 1                                 // 00000000A700: D1C800E2 02052122
	v_add3_u32 v226, v34, v226, v229                           // 00000000A708: D1FF00E2 0797C522
	v_cndmask_b32_e64 v32, v226, v228, s[74:75]                // 00000000A710: D1000020 012BC9E2
	v_lshrrev_b32_e32 v32, 16, v32                             // 00000000A718: 20404090
	v_cmp_u_f32_e64 s[74:75], v35, v35                         // 00000000A71C: D048004A 00024723
	v_bfe_u32 v226, v35, 16, 1                                 // 00000000A724: D1C800E2 02052123
	v_add3_u32 v226, v35, v226, v229                           // 00000000A72C: D1FF00E2 0797C523
	v_cndmask_b32_e64 v33, v226, v228, s[74:75]                // 00000000A734: D1000021 012BC9E2
	v_and_or_b32 v181, v33, v227, v32                          // 00000000A73C: D20100B5 0483C721
	v_mov_b32_e32 v34, v186                                    // 00000000A744: 7E4403BA
	v_mov_b32_e32 v35, v187                                    // 00000000A748: 7E4603BB
	v_cmp_u_f32_e64 s[74:75], v34, v34                         // 00000000A74C: D048004A 00024522
	v_bfe_u32 v226, v34, 16, 1                                 // 00000000A754: D1C800E2 02052122
	v_add3_u32 v226, v34, v226, v229                           // 00000000A75C: D1FF00E2 0797C522
	v_cndmask_b32_e64 v32, v226, v228, s[74:75]                // 00000000A764: D1000020 012BC9E2
	v_lshrrev_b32_e32 v32, 16, v32                             // 00000000A76C: 20404090
	v_cmp_u_f32_e64 s[74:75], v35, v35                         // 00000000A770: D048004A 00024723
	v_bfe_u32 v226, v35, 16, 1                                 // 00000000A778: D1C800E2 02052123
	v_add3_u32 v226, v35, v226, v229                           // 00000000A780: D1FF00E2 0797C523
	v_cndmask_b32_e64 v33, v226, v228, s[74:75]                // 00000000A788: D1000021 012BC9E2
	v_and_or_b32 v182, v33, v227, v32                          // 00000000A790: D20100B6 0483C721
	v_mov_b32_e32 v34, v188                                    // 00000000A798: 7E4403BC
	v_mov_b32_e32 v35, v189                                    // 00000000A79C: 7E4603BD
	v_cmp_u_f32_e64 s[74:75], v34, v34                         // 00000000A7A0: D048004A 00024522
	v_bfe_u32 v226, v34, 16, 1                                 // 00000000A7A8: D1C800E2 02052122
	v_add3_u32 v226, v34, v226, v229                           // 00000000A7B0: D1FF00E2 0797C522
	v_cndmask_b32_e64 v32, v226, v228, s[74:75]                // 00000000A7B8: D1000020 012BC9E2
	v_lshrrev_b32_e32 v32, 16, v32                             // 00000000A7C0: 20404090
	v_cmp_u_f32_e64 s[74:75], v35, v35                         // 00000000A7C4: D048004A 00024723
	v_bfe_u32 v226, v35, 16, 1                                 // 00000000A7CC: D1C800E2 02052123
	v_add3_u32 v226, v35, v226, v229                           // 00000000A7D4: D1FF00E2 0797C523
	v_cndmask_b32_e64 v33, v226, v228, s[74:75]                // 00000000A7DC: D1000021 012BC9E2
	v_and_or_b32 v183, v33, v227, v32                          // 00000000A7E4: D20100B7 0483C721
	v_mov_b32_e32 v34, v190                                    // 00000000A7EC: 7E4403BE
	v_mov_b32_e32 v35, v191                                    // 00000000A7F0: 7E4603BF
	v_cmp_u_f32_e64 s[74:75], v34, v34                         // 00000000A7F4: D048004A 00024522
	v_bfe_u32 v226, v34, 16, 1                                 // 00000000A7FC: D1C800E2 02052122
	v_add3_u32 v226, v34, v226, v229                           // 00000000A804: D1FF00E2 0797C522
	v_cndmask_b32_e64 v32, v226, v228, s[74:75]                // 00000000A80C: D1000020 012BC9E2
	v_lshrrev_b32_e32 v32, 16, v32                             // 00000000A814: 20404090
	v_cmp_u_f32_e64 s[74:75], v35, v35                         // 00000000A818: D048004A 00024723
	v_bfe_u32 v226, v35, 16, 1                                 // 00000000A820: D1C800E2 02052123
	v_add3_u32 v226, v35, v226, v229                           // 00000000A828: D1FF00E2 0797C523
	v_cndmask_b32_e64 v33, v226, v228, s[74:75]                // 00000000A830: D1000021 012BC9E2
	v_and_or_b32 v184, v33, v227, v32                          // 00000000A838: D20100B8 0483C721
	v_mov_b32_e32 v34, v192                                    // 00000000A840: 7E4403C0
	v_mov_b32_e32 v35, v193                                    // 00000000A844: 7E4603C1
	v_cmp_u_f32_e64 s[74:75], v34, v34                         // 00000000A848: D048004A 00024522
	v_bfe_u32 v226, v34, 16, 1                                 // 00000000A850: D1C800E2 02052122
	v_add3_u32 v226, v34, v226, v229                           // 00000000A858: D1FF00E2 0797C522
	v_cndmask_b32_e64 v32, v226, v228, s[74:75]                // 00000000A860: D1000020 012BC9E2
	v_lshrrev_b32_e32 v32, 16, v32                             // 00000000A868: 20404090
	v_cmp_u_f32_e64 s[74:75], v35, v35                         // 00000000A86C: D048004A 00024723
	v_bfe_u32 v226, v35, 16, 1                                 // 00000000A874: D1C800E2 02052123
	v_add3_u32 v226, v35, v226, v229                           // 00000000A87C: D1FF00E2 0797C523
	v_cndmask_b32_e64 v33, v226, v228, s[74:75]                // 00000000A884: D1000021 012BC9E2
	v_and_or_b32 v185, v33, v227, v32                          // 00000000A88C: D20100B9 0483C721
	ds_write_b64 v31, v[178:179]                               // 00000000A894: D89A0000 0000B21F
	ds_write_b64 v31, v[180:181] offset:544                    // 00000000A89C: D89A0220 0000B41F
	ds_write_b64 v31, v[182:183] offset:1088                   // 00000000A8A4: D89A0440 0000B61F
	ds_write_b64 v31, v[184:185] offset:1632                   // 00000000A8AC: D89A0660 0000B81F
	s_waitcnt lgkmcnt(0)                                       // 00000000A8B4: BF8CC07F
	s_barrier                                                  // 00000000A8B8: BF8A0000
	ds_read_b64 v[178:179], v30                                // 00000000A8BC: D8EC0000 B200001E
	ds_read_b64 v[180:181], v30 offset:128                     // 00000000A8C4: D8EC0080 B400001E
	ds_read_b64 v[182:183], v30 offset:64                      // 00000000A8CC: D8EC0040 B600001E
	ds_read_b64 v[184:185], v30 offset:192                     // 00000000A8D4: D8EC00C0 B800001E
	s_waitcnt lgkmcnt(0)                                       // 00000000A8DC: BF8CC07F
	buffer_store_dwordx4 v[178:181], v14, s[40:43], 0 idxen    // 00000000A8E0: E07C2000 800AB20E
	s_mul_i32 s60, 2, s46                                      // 00000000A8E8: 923C2E82
	v_add_u32_e32 v14, s60, v14                                // 00000000A8EC: 681C1C3C
	buffer_store_dwordx4 v[182:185], v14, s[40:43], 0 idxen    // 00000000A8F0: E07C2000 800AB60E
	s_mul_i32 s60, 2, s46                                      // 00000000A8F8: 923C2E82
	v_add_u32_e32 v14, s60, v14                                // 00000000A8FC: 681C1C3C
	s_mul_i32 s60, 12, s46                                     // 00000000A900: 923C2E8C
	v_add_u32_e32 v14, s60, v14                                // 00000000A904: 681C1C3C
	s_cmp_ge_i32 1, s73                                        // 00000000A908: BF034981
	s_cbranch_scc1 label_1BD2                                  // 00000000A90C: BF85018E
	v_mov_b32_e32 v34, v194                                    // 00000000A910: 7E4403C2
	v_mov_b32_e32 v35, v195                                    // 00000000A914: 7E4603C3
	v_cmp_u_f32_e64 s[74:75], v34, v34                         // 00000000A918: D048004A 00024522
	v_bfe_u32 v226, v34, 16, 1                                 // 00000000A920: D1C800E2 02052122
	v_add3_u32 v226, v34, v226, v229                           // 00000000A928: D1FF00E2 0797C522
	v_cndmask_b32_e64 v32, v226, v228, s[74:75]                // 00000000A930: D1000020 012BC9E2
	v_lshrrev_b32_e32 v32, 16, v32                             // 00000000A938: 20404090
	v_cmp_u_f32_e64 s[74:75], v35, v35                         // 00000000A93C: D048004A 00024723
	v_bfe_u32 v226, v35, 16, 1                                 // 00000000A944: D1C800E2 02052123
	v_add3_u32 v226, v35, v226, v229                           // 00000000A94C: D1FF00E2 0797C523
	v_cndmask_b32_e64 v33, v226, v228, s[74:75]                // 00000000A954: D1000021 012BC9E2
	v_and_or_b32 v186, v33, v227, v32                          // 00000000A95C: D20100BA 0483C721
	v_mov_b32_e32 v34, v196                                    // 00000000A964: 7E4403C4
	v_mov_b32_e32 v35, v197                                    // 00000000A968: 7E4603C5
	v_cmp_u_f32_e64 s[74:75], v34, v34                         // 00000000A96C: D048004A 00024522
	v_bfe_u32 v226, v34, 16, 1                                 // 00000000A974: D1C800E2 02052122
	v_add3_u32 v226, v34, v226, v229                           // 00000000A97C: D1FF00E2 0797C522
	v_cndmask_b32_e64 v32, v226, v228, s[74:75]                // 00000000A984: D1000020 012BC9E2
	v_lshrrev_b32_e32 v32, 16, v32                             // 00000000A98C: 20404090
	v_cmp_u_f32_e64 s[74:75], v35, v35                         // 00000000A990: D048004A 00024723
	v_bfe_u32 v226, v35, 16, 1                                 // 00000000A998: D1C800E2 02052123
	v_add3_u32 v226, v35, v226, v229                           // 00000000A9A0: D1FF00E2 0797C523
	v_cndmask_b32_e64 v33, v226, v228, s[74:75]                // 00000000A9A8: D1000021 012BC9E2
	v_and_or_b32 v187, v33, v227, v32                          // 00000000A9B0: D20100BB 0483C721
	v_mov_b32_e32 v34, v198                                    // 00000000A9B8: 7E4403C6
	v_mov_b32_e32 v35, v199                                    // 00000000A9BC: 7E4603C7
	v_cmp_u_f32_e64 s[74:75], v34, v34                         // 00000000A9C0: D048004A 00024522
	v_bfe_u32 v226, v34, 16, 1                                 // 00000000A9C8: D1C800E2 02052122
	v_add3_u32 v226, v34, v226, v229                           // 00000000A9D0: D1FF00E2 0797C522
	v_cndmask_b32_e64 v32, v226, v228, s[74:75]                // 00000000A9D8: D1000020 012BC9E2
	v_lshrrev_b32_e32 v32, 16, v32                             // 00000000A9E0: 20404090
	v_cmp_u_f32_e64 s[74:75], v35, v35                         // 00000000A9E4: D048004A 00024723
	v_bfe_u32 v226, v35, 16, 1                                 // 00000000A9EC: D1C800E2 02052123
	v_add3_u32 v226, v35, v226, v229                           // 00000000A9F4: D1FF00E2 0797C523
	v_cndmask_b32_e64 v33, v226, v228, s[74:75]                // 00000000A9FC: D1000021 012BC9E2
	v_and_or_b32 v188, v33, v227, v32                          // 00000000AA04: D20100BC 0483C721
	v_mov_b32_e32 v34, v200                                    // 00000000AA0C: 7E4403C8
	v_mov_b32_e32 v35, v201                                    // 00000000AA10: 7E4603C9
	v_cmp_u_f32_e64 s[74:75], v34, v34                         // 00000000AA14: D048004A 00024522
	v_bfe_u32 v226, v34, 16, 1                                 // 00000000AA1C: D1C800E2 02052122
	v_add3_u32 v226, v34, v226, v229                           // 00000000AA24: D1FF00E2 0797C522
	v_cndmask_b32_e64 v32, v226, v228, s[74:75]                // 00000000AA2C: D1000020 012BC9E2
	v_lshrrev_b32_e32 v32, 16, v32                             // 00000000AA34: 20404090
	v_cmp_u_f32_e64 s[74:75], v35, v35                         // 00000000AA38: D048004A 00024723
	v_bfe_u32 v226, v35, 16, 1                                 // 00000000AA40: D1C800E2 02052123
	v_add3_u32 v226, v35, v226, v229                           // 00000000AA48: D1FF00E2 0797C523
	v_cndmask_b32_e64 v33, v226, v228, s[74:75]                // 00000000AA50: D1000021 012BC9E2
	v_and_or_b32 v189, v33, v227, v32                          // 00000000AA58: D20100BD 0483C721
	v_mov_b32_e32 v34, v202                                    // 00000000AA60: 7E4403CA
	v_mov_b32_e32 v35, v203                                    // 00000000AA64: 7E4603CB
	v_cmp_u_f32_e64 s[74:75], v34, v34                         // 00000000AA68: D048004A 00024522
	v_bfe_u32 v226, v34, 16, 1                                 // 00000000AA70: D1C800E2 02052122
	v_add3_u32 v226, v34, v226, v229                           // 00000000AA78: D1FF00E2 0797C522
	v_cndmask_b32_e64 v32, v226, v228, s[74:75]                // 00000000AA80: D1000020 012BC9E2
	v_lshrrev_b32_e32 v32, 16, v32                             // 00000000AA88: 20404090
	v_cmp_u_f32_e64 s[74:75], v35, v35                         // 00000000AA8C: D048004A 00024723
	v_bfe_u32 v226, v35, 16, 1                                 // 00000000AA94: D1C800E2 02052123
	v_add3_u32 v226, v35, v226, v229                           // 00000000AA9C: D1FF00E2 0797C523
	v_cndmask_b32_e64 v33, v226, v228, s[74:75]                // 00000000AAA4: D1000021 012BC9E2
	v_and_or_b32 v190, v33, v227, v32                          // 00000000AAAC: D20100BE 0483C721
	v_mov_b32_e32 v34, v204                                    // 00000000AAB4: 7E4403CC
	v_mov_b32_e32 v35, v205                                    // 00000000AAB8: 7E4603CD
	v_cmp_u_f32_e64 s[74:75], v34, v34                         // 00000000AABC: D048004A 00024522
	v_bfe_u32 v226, v34, 16, 1                                 // 00000000AAC4: D1C800E2 02052122
	v_add3_u32 v226, v34, v226, v229                           // 00000000AACC: D1FF00E2 0797C522
	v_cndmask_b32_e64 v32, v226, v228, s[74:75]                // 00000000AAD4: D1000020 012BC9E2
	v_lshrrev_b32_e32 v32, 16, v32                             // 00000000AADC: 20404090
	v_cmp_u_f32_e64 s[74:75], v35, v35                         // 00000000AAE0: D048004A 00024723
	v_bfe_u32 v226, v35, 16, 1                                 // 00000000AAE8: D1C800E2 02052123
	v_add3_u32 v226, v35, v226, v229                           // 00000000AAF0: D1FF00E2 0797C523
	v_cndmask_b32_e64 v33, v226, v228, s[74:75]                // 00000000AAF8: D1000021 012BC9E2
	v_and_or_b32 v191, v33, v227, v32                          // 00000000AB00: D20100BF 0483C721
	v_mov_b32_e32 v34, v206                                    // 00000000AB08: 7E4403CE
	v_mov_b32_e32 v35, v207                                    // 00000000AB0C: 7E4603CF
	v_cmp_u_f32_e64 s[74:75], v34, v34                         // 00000000AB10: D048004A 00024522
	v_bfe_u32 v226, v34, 16, 1                                 // 00000000AB18: D1C800E2 02052122
	v_add3_u32 v226, v34, v226, v229                           // 00000000AB20: D1FF00E2 0797C522
	v_cndmask_b32_e64 v32, v226, v228, s[74:75]                // 00000000AB28: D1000020 012BC9E2
	v_lshrrev_b32_e32 v32, 16, v32                             // 00000000AB30: 20404090
	v_cmp_u_f32_e64 s[74:75], v35, v35                         // 00000000AB34: D048004A 00024723
	v_bfe_u32 v226, v35, 16, 1                                 // 00000000AB3C: D1C800E2 02052123
	v_add3_u32 v226, v35, v226, v229                           // 00000000AB44: D1FF00E2 0797C523
	v_cndmask_b32_e64 v33, v226, v228, s[74:75]                // 00000000AB4C: D1000021 012BC9E2
	v_and_or_b32 v192, v33, v227, v32                          // 00000000AB54: D20100C0 0483C721
	v_mov_b32_e32 v34, v208                                    // 00000000AB5C: 7E4403D0
	v_mov_b32_e32 v35, v209                                    // 00000000AB60: 7E4603D1
	v_cmp_u_f32_e64 s[74:75], v34, v34                         // 00000000AB64: D048004A 00024522
	v_bfe_u32 v226, v34, 16, 1                                 // 00000000AB6C: D1C800E2 02052122
	v_add3_u32 v226, v34, v226, v229                           // 00000000AB74: D1FF00E2 0797C522
	v_cndmask_b32_e64 v32, v226, v228, s[74:75]                // 00000000AB7C: D1000020 012BC9E2
	v_lshrrev_b32_e32 v32, 16, v32                             // 00000000AB84: 20404090
	v_cmp_u_f32_e64 s[74:75], v35, v35                         // 00000000AB88: D048004A 00024723
	v_bfe_u32 v226, v35, 16, 1                                 // 00000000AB90: D1C800E2 02052123
	v_add3_u32 v226, v35, v226, v229                           // 00000000AB98: D1FF00E2 0797C523
	v_cndmask_b32_e64 v33, v226, v228, s[74:75]                // 00000000ABA0: D1000021 012BC9E2
	v_and_or_b32 v193, v33, v227, v32                          // 00000000ABA8: D20100C1 0483C721
	ds_write_b64 v31, v[186:187] offset:8704                   // 00000000ABB0: D89A2200 0000BA1F
	ds_write_b64 v31, v[188:189] offset:9248                   // 00000000ABB8: D89A2420 0000BC1F
	ds_write_b64 v31, v[190:191] offset:9792                   // 00000000ABC0: D89A2640 0000BE1F
	ds_write_b64 v31, v[192:193] offset:10336                  // 00000000ABC8: D89A2860 0000C01F
	s_waitcnt lgkmcnt(0)                                       // 00000000ABD0: BF8CC07F
	s_barrier                                                  // 00000000ABD4: BF8A0000
	ds_read_b64 v[186:187], v30 offset:8704                    // 00000000ABD8: D8EC2200 BA00001E
	ds_read_b64 v[188:189], v30 offset:8832                    // 00000000ABE0: D8EC2280 BC00001E
	ds_read_b64 v[190:191], v30 offset:8768                    // 00000000ABE8: D8EC2240 BE00001E
	ds_read_b64 v[192:193], v30 offset:8896                    // 00000000ABF0: D8EC22C0 C000001E
	s_waitcnt lgkmcnt(0)                                       // 00000000ABF8: BF8CC07F
	buffer_store_dwordx4 v[186:189], v14, s[40:43], 0 idxen    // 00000000ABFC: E07C2000 800ABA0E
	s_mul_i32 s60, 2, s46                                      // 00000000AC04: 923C2E82
	v_add_u32_e32 v14, s60, v14                                // 00000000AC08: 681C1C3C
	buffer_store_dwordx4 v[190:193], v14, s[40:43], 0 idxen    // 00000000AC0C: E07C2000 800ABE0E
	s_mul_i32 s60, 2, s46                                      // 00000000AC14: 923C2E82
	v_add_u32_e32 v14, s60, v14                                // 00000000AC18: 681C1C3C
	s_mul_i32 s60, 12, s46                                     // 00000000AC1C: 923C2E8C
	v_add_u32_e32 v14, s60, v14                                // 00000000AC20: 681C1C3C
	s_cmp_ge_i32 2, s73                                        // 00000000AC24: BF034982
	s_cbranch_scc1 label_1BD2                                  // 00000000AC28: BF8500C7
	v_mov_b32_e32 v34, v210                                    // 00000000AC2C: 7E4403D2
	v_mov_b32_e32 v35, v211                                    // 00000000AC30: 7E4603D3
	v_cmp_u_f32_e64 s[74:75], v34, v34                         // 00000000AC34: D048004A 00024522
	v_bfe_u32 v226, v34, 16, 1                                 // 00000000AC3C: D1C800E2 02052122
	v_add3_u32 v226, v34, v226, v229                           // 00000000AC44: D1FF00E2 0797C522
	v_cndmask_b32_e64 v32, v226, v228, s[74:75]                // 00000000AC4C: D1000020 012BC9E2
	v_lshrrev_b32_e32 v32, 16, v32                             // 00000000AC54: 20404090
	v_cmp_u_f32_e64 s[74:75], v35, v35                         // 00000000AC58: D048004A 00024723
	v_bfe_u32 v226, v35, 16, 1                                 // 00000000AC60: D1C800E2 02052123
	v_add3_u32 v226, v35, v226, v229                           // 00000000AC68: D1FF00E2 0797C523
	v_cndmask_b32_e64 v33, v226, v228, s[74:75]                // 00000000AC70: D1000021 012BC9E2
	v_and_or_b32 v194, v33, v227, v32                          // 00000000AC78: D20100C2 0483C721
	v_mov_b32_e32 v34, v212                                    // 00000000AC80: 7E4403D4
	v_mov_b32_e32 v35, v213                                    // 00000000AC84: 7E4603D5
	v_cmp_u_f32_e64 s[74:75], v34, v34                         // 00000000AC88: D048004A 00024522
	v_bfe_u32 v226, v34, 16, 1                                 // 00000000AC90: D1C800E2 02052122
	v_add3_u32 v226, v34, v226, v229                           // 00000000AC98: D1FF00E2 0797C522
	v_cndmask_b32_e64 v32, v226, v228, s[74:75]                // 00000000ACA0: D1000020 012BC9E2
	v_lshrrev_b32_e32 v32, 16, v32                             // 00000000ACA8: 20404090
	v_cmp_u_f32_e64 s[74:75], v35, v35                         // 00000000ACAC: D048004A 00024723
	v_bfe_u32 v226, v35, 16, 1                                 // 00000000ACB4: D1C800E2 02052123
	v_add3_u32 v226, v35, v226, v229                           // 00000000ACBC: D1FF00E2 0797C523
	v_cndmask_b32_e64 v33, v226, v228, s[74:75]                // 00000000ACC4: D1000021 012BC9E2
	v_and_or_b32 v195, v33, v227, v32                          // 00000000ACCC: D20100C3 0483C721
	v_mov_b32_e32 v34, v214                                    // 00000000ACD4: 7E4403D6
	v_mov_b32_e32 v35, v215                                    // 00000000ACD8: 7E4603D7
	v_cmp_u_f32_e64 s[74:75], v34, v34                         // 00000000ACDC: D048004A 00024522
	v_bfe_u32 v226, v34, 16, 1                                 // 00000000ACE4: D1C800E2 02052122
	v_add3_u32 v226, v34, v226, v229                           // 00000000ACEC: D1FF00E2 0797C522
	v_cndmask_b32_e64 v32, v226, v228, s[74:75]                // 00000000ACF4: D1000020 012BC9E2
	v_lshrrev_b32_e32 v32, 16, v32                             // 00000000ACFC: 20404090
	v_cmp_u_f32_e64 s[74:75], v35, v35                         // 00000000AD00: D048004A 00024723
	v_bfe_u32 v226, v35, 16, 1                                 // 00000000AD08: D1C800E2 02052123
	v_add3_u32 v226, v35, v226, v229                           // 00000000AD10: D1FF00E2 0797C523
	v_cndmask_b32_e64 v33, v226, v228, s[74:75]                // 00000000AD18: D1000021 012BC9E2
	v_and_or_b32 v196, v33, v227, v32                          // 00000000AD20: D20100C4 0483C721
	v_mov_b32_e32 v34, v216                                    // 00000000AD28: 7E4403D8
	v_mov_b32_e32 v35, v217                                    // 00000000AD2C: 7E4603D9
	v_cmp_u_f32_e64 s[74:75], v34, v34                         // 00000000AD30: D048004A 00024522
	v_bfe_u32 v226, v34, 16, 1                                 // 00000000AD38: D1C800E2 02052122
	v_add3_u32 v226, v34, v226, v229                           // 00000000AD40: D1FF00E2 0797C522
	v_cndmask_b32_e64 v32, v226, v228, s[74:75]                // 00000000AD48: D1000020 012BC9E2
	v_lshrrev_b32_e32 v32, 16, v32                             // 00000000AD50: 20404090
	v_cmp_u_f32_e64 s[74:75], v35, v35                         // 00000000AD54: D048004A 00024723
	v_bfe_u32 v226, v35, 16, 1                                 // 00000000AD5C: D1C800E2 02052123
	v_add3_u32 v226, v35, v226, v229                           // 00000000AD64: D1FF00E2 0797C523
	v_cndmask_b32_e64 v33, v226, v228, s[74:75]                // 00000000AD6C: D1000021 012BC9E2
	v_and_or_b32 v197, v33, v227, v32                          // 00000000AD74: D20100C5 0483C721
	v_mov_b32_e32 v34, v218                                    // 00000000AD7C: 7E4403DA
	v_mov_b32_e32 v35, v219                                    // 00000000AD80: 7E4603DB
	v_cmp_u_f32_e64 s[74:75], v34, v34                         // 00000000AD84: D048004A 00024522
	v_bfe_u32 v226, v34, 16, 1                                 // 00000000AD8C: D1C800E2 02052122
	v_add3_u32 v226, v34, v226, v229                           // 00000000AD94: D1FF00E2 0797C522
	v_cndmask_b32_e64 v32, v226, v228, s[74:75]                // 00000000AD9C: D1000020 012BC9E2
	v_lshrrev_b32_e32 v32, 16, v32                             // 00000000ADA4: 20404090
	v_cmp_u_f32_e64 s[74:75], v35, v35                         // 00000000ADA8: D048004A 00024723
	v_bfe_u32 v226, v35, 16, 1                                 // 00000000ADB0: D1C800E2 02052123
	v_add3_u32 v226, v35, v226, v229                           // 00000000ADB8: D1FF00E2 0797C523
	v_cndmask_b32_e64 v33, v226, v228, s[74:75]                // 00000000ADC0: D1000021 012BC9E2
	v_and_or_b32 v198, v33, v227, v32                          // 00000000ADC8: D20100C6 0483C721
	v_mov_b32_e32 v34, v220                                    // 00000000ADD0: 7E4403DC
	v_mov_b32_e32 v35, v221                                    // 00000000ADD4: 7E4603DD
	v_cmp_u_f32_e64 s[74:75], v34, v34                         // 00000000ADD8: D048004A 00024522
	v_bfe_u32 v226, v34, 16, 1                                 // 00000000ADE0: D1C800E2 02052122
	v_add3_u32 v226, v34, v226, v229                           // 00000000ADE8: D1FF00E2 0797C522
	v_cndmask_b32_e64 v32, v226, v228, s[74:75]                // 00000000ADF0: D1000020 012BC9E2
	v_lshrrev_b32_e32 v32, 16, v32                             // 00000000ADF8: 20404090
	v_cmp_u_f32_e64 s[74:75], v35, v35                         // 00000000ADFC: D048004A 00024723
	v_bfe_u32 v226, v35, 16, 1                                 // 00000000AE04: D1C800E2 02052123
	v_add3_u32 v226, v35, v226, v229                           // 00000000AE0C: D1FF00E2 0797C523
	v_cndmask_b32_e64 v33, v226, v228, s[74:75]                // 00000000AE14: D1000021 012BC9E2
	v_and_or_b32 v199, v33, v227, v32                          // 00000000AE1C: D20100C7 0483C721
	v_mov_b32_e32 v34, v222                                    // 00000000AE24: 7E4403DE
	v_mov_b32_e32 v35, v223                                    // 00000000AE28: 7E4603DF
	v_cmp_u_f32_e64 s[74:75], v34, v34                         // 00000000AE2C: D048004A 00024522
	v_bfe_u32 v226, v34, 16, 1                                 // 00000000AE34: D1C800E2 02052122
	v_add3_u32 v226, v34, v226, v229                           // 00000000AE3C: D1FF00E2 0797C522
	v_cndmask_b32_e64 v32, v226, v228, s[74:75]                // 00000000AE44: D1000020 012BC9E2
	v_lshrrev_b32_e32 v32, 16, v32                             // 00000000AE4C: 20404090
	v_cmp_u_f32_e64 s[74:75], v35, v35                         // 00000000AE50: D048004A 00024723
	v_bfe_u32 v226, v35, 16, 1                                 // 00000000AE58: D1C800E2 02052123
	v_add3_u32 v226, v35, v226, v229                           // 00000000AE60: D1FF00E2 0797C523
	v_cndmask_b32_e64 v33, v226, v228, s[74:75]                // 00000000AE68: D1000021 012BC9E2
	v_and_or_b32 v200, v33, v227, v32                          // 00000000AE70: D20100C8 0483C721
	v_mov_b32_e32 v34, v224                                    // 00000000AE78: 7E4403E0
	v_mov_b32_e32 v35, v225                                    // 00000000AE7C: 7E4603E1
	v_cmp_u_f32_e64 s[74:75], v34, v34                         // 00000000AE80: D048004A 00024522
	v_bfe_u32 v226, v34, 16, 1                                 // 00000000AE88: D1C800E2 02052122
	v_add3_u32 v226, v34, v226, v229                           // 00000000AE90: D1FF00E2 0797C522
	v_cndmask_b32_e64 v32, v226, v228, s[74:75]                // 00000000AE98: D1000020 012BC9E2
	v_lshrrev_b32_e32 v32, 16, v32                             // 00000000AEA0: 20404090
	v_cmp_u_f32_e64 s[74:75], v35, v35                         // 00000000AEA4: D048004A 00024723
	v_bfe_u32 v226, v35, 16, 1                                 // 00000000AEAC: D1C800E2 02052123
	v_add3_u32 v226, v35, v226, v229                           // 00000000AEB4: D1FF00E2 0797C523
	v_cndmask_b32_e64 v33, v226, v228, s[74:75]                // 00000000AEBC: D1000021 012BC9E2
	v_and_or_b32 v201, v33, v227, v32                          // 00000000AEC4: D20100C9 0483C721
	ds_write_b64 v31, v[194:195] offset:17408                  // 00000000AECC: D89A4400 0000C21F
	ds_write_b64 v31, v[196:197] offset:17952                  // 00000000AED4: D89A4620 0000C41F
	ds_write_b64 v31, v[198:199] offset:18496                  // 00000000AEDC: D89A4840 0000C61F
	ds_write_b64 v31, v[200:201] offset:19040                  // 00000000AEE4: D89A4A60 0000C81F
	s_waitcnt lgkmcnt(0)                                       // 00000000AEEC: BF8CC07F
	s_barrier                                                  // 00000000AEF0: BF8A0000
	ds_read_b64 v[194:195], v30 offset:17408                   // 00000000AEF4: D8EC4400 C200001E
	ds_read_b64 v[196:197], v30 offset:17536                   // 00000000AEFC: D8EC4480 C400001E
	ds_read_b64 v[198:199], v30 offset:17472                   // 00000000AF04: D8EC4440 C600001E
	ds_read_b64 v[200:201], v30 offset:17600                   // 00000000AF0C: D8EC44C0 C800001E
	s_waitcnt lgkmcnt(0)                                       // 00000000AF14: BF8CC07F
	buffer_store_dwordx4 v[194:197], v14, s[40:43], 0 idxen    // 00000000AF18: E07C2000 800AC20E
	s_mul_i32 s60, 2, s46                                      // 00000000AF20: 923C2E82
	v_add_u32_e32 v14, s60, v14                                // 00000000AF24: 681C1C3C
	buffer_store_dwordx4 v[198:201], v14, s[40:43], 0 idxen    // 00000000AF28: E07C2000 800AC60E
	s_mul_i32 s60, 2, s46                                      // 00000000AF30: 923C2E82
	v_add_u32_e32 v14, s60, v14                                // 00000000AF34: 681C1C3C
	s_mul_i32 s60, 12, s46                                     // 00000000AF38: 923C2E8C
	v_add_u32_e32 v14, s60, v14                                // 00000000AF3C: 681C1C3C
	s_cmp_ge_i32 3, s73                                        // 00000000AF40: BF034983
	s_cbranch_scc1 label_1BD2                                  // 00000000AF44: BF850000

000000000000af48 <label_1BD2>:
	s_waitcnt vmcnt(0) expcnt(0) lgkmcnt(0)                    // 00000000AF48: BF8C0000
	s_endpgm                                                   // 00000000AF4C: BF810000
